;; amdgpu-corpus repo=ROCm/rocFFT kind=compiled arch=gfx1030 opt=O3
	.text
	.amdgcn_target "amdgcn-amd-amdhsa--gfx1030"
	.amdhsa_code_object_version 6
	.protected	fft_rtc_back_len2197_factors_13_13_13_wgs_169_tpt_169_halfLds_sp_ip_CI_sbrr_dirReg ; -- Begin function fft_rtc_back_len2197_factors_13_13_13_wgs_169_tpt_169_halfLds_sp_ip_CI_sbrr_dirReg
	.globl	fft_rtc_back_len2197_factors_13_13_13_wgs_169_tpt_169_halfLds_sp_ip_CI_sbrr_dirReg
	.p2align	8
	.type	fft_rtc_back_len2197_factors_13_13_13_wgs_169_tpt_169_halfLds_sp_ip_CI_sbrr_dirReg,@function
fft_rtc_back_len2197_factors_13_13_13_wgs_169_tpt_169_halfLds_sp_ip_CI_sbrr_dirReg: ; @fft_rtc_back_len2197_factors_13_13_13_wgs_169_tpt_169_halfLds_sp_ip_CI_sbrr_dirReg
; %bb.0:
	s_clause 0x2
	s_load_dwordx2 s[14:15], s[4:5], 0x18
	s_load_dwordx4 s[8:11], s[4:5], 0x0
	s_load_dwordx2 s[12:13], s[4:5], 0x50
	v_mul_u32_u24_e32 v1, 0x184, v0
	v_mov_b32_e32 v3, 0
	v_add_nc_u32_sdwa v5, s6, v1 dst_sel:DWORD dst_unused:UNUSED_PAD src0_sel:DWORD src1_sel:WORD_1
	v_mov_b32_e32 v1, 0
	v_mov_b32_e32 v6, v3
	v_mov_b32_e32 v2, 0
	s_waitcnt lgkmcnt(0)
	s_load_dwordx2 s[2:3], s[14:15], 0x0
	v_cmp_lt_u64_e64 s0, s[10:11], 2
	s_and_b32 vcc_lo, exec_lo, s0
	s_cbranch_vccnz .LBB0_8
; %bb.1:
	s_load_dwordx2 s[0:1], s[4:5], 0x10
	v_mov_b32_e32 v1, 0
	s_add_u32 s6, s14, 8
	v_mov_b32_e32 v2, 0
	s_addc_u32 s7, s15, 0
	s_mov_b64 s[18:19], 1
	s_waitcnt lgkmcnt(0)
	s_add_u32 s16, s0, 8
	s_addc_u32 s17, s1, 0
.LBB0_2:                                ; =>This Inner Loop Header: Depth=1
	s_load_dwordx2 s[20:21], s[16:17], 0x0
                                        ; implicit-def: $vgpr7_vgpr8
	s_mov_b32 s0, exec_lo
	s_waitcnt lgkmcnt(0)
	v_or_b32_e32 v4, s21, v6
	v_cmpx_ne_u64_e32 0, v[3:4]
	s_xor_b32 s1, exec_lo, s0
	s_cbranch_execz .LBB0_4
; %bb.3:                                ;   in Loop: Header=BB0_2 Depth=1
	v_cvt_f32_u32_e32 v4, s20
	v_cvt_f32_u32_e32 v7, s21
	s_sub_u32 s0, 0, s20
	s_subb_u32 s22, 0, s21
	v_fmac_f32_e32 v4, 0x4f800000, v7
	v_rcp_f32_e32 v4, v4
	v_mul_f32_e32 v4, 0x5f7ffffc, v4
	v_mul_f32_e32 v7, 0x2f800000, v4
	v_trunc_f32_e32 v7, v7
	v_fmac_f32_e32 v4, 0xcf800000, v7
	v_cvt_u32_f32_e32 v7, v7
	v_cvt_u32_f32_e32 v4, v4
	v_mul_lo_u32 v8, s0, v7
	v_mul_hi_u32 v9, s0, v4
	v_mul_lo_u32 v10, s22, v4
	v_add_nc_u32_e32 v8, v9, v8
	v_mul_lo_u32 v9, s0, v4
	v_add_nc_u32_e32 v8, v8, v10
	v_mul_hi_u32 v10, v4, v9
	v_mul_lo_u32 v11, v4, v8
	v_mul_hi_u32 v12, v4, v8
	v_mul_hi_u32 v13, v7, v9
	v_mul_lo_u32 v9, v7, v9
	v_mul_hi_u32 v14, v7, v8
	v_mul_lo_u32 v8, v7, v8
	v_add_co_u32 v10, vcc_lo, v10, v11
	v_add_co_ci_u32_e32 v11, vcc_lo, 0, v12, vcc_lo
	v_add_co_u32 v9, vcc_lo, v10, v9
	v_add_co_ci_u32_e32 v9, vcc_lo, v11, v13, vcc_lo
	v_add_co_ci_u32_e32 v10, vcc_lo, 0, v14, vcc_lo
	v_add_co_u32 v8, vcc_lo, v9, v8
	v_add_co_ci_u32_e32 v9, vcc_lo, 0, v10, vcc_lo
	v_add_co_u32 v4, vcc_lo, v4, v8
	v_add_co_ci_u32_e32 v7, vcc_lo, v7, v9, vcc_lo
	v_mul_hi_u32 v8, s0, v4
	v_mul_lo_u32 v10, s22, v4
	v_mul_lo_u32 v9, s0, v7
	v_add_nc_u32_e32 v8, v8, v9
	v_mul_lo_u32 v9, s0, v4
	v_add_nc_u32_e32 v8, v8, v10
	v_mul_hi_u32 v10, v4, v9
	v_mul_lo_u32 v11, v4, v8
	v_mul_hi_u32 v12, v4, v8
	v_mul_hi_u32 v13, v7, v9
	v_mul_lo_u32 v9, v7, v9
	v_mul_hi_u32 v14, v7, v8
	v_mul_lo_u32 v8, v7, v8
	v_add_co_u32 v10, vcc_lo, v10, v11
	v_add_co_ci_u32_e32 v11, vcc_lo, 0, v12, vcc_lo
	v_add_co_u32 v9, vcc_lo, v10, v9
	v_add_co_ci_u32_e32 v9, vcc_lo, v11, v13, vcc_lo
	v_add_co_ci_u32_e32 v10, vcc_lo, 0, v14, vcc_lo
	v_add_co_u32 v8, vcc_lo, v9, v8
	v_add_co_ci_u32_e32 v9, vcc_lo, 0, v10, vcc_lo
	v_add_co_u32 v4, vcc_lo, v4, v8
	v_add_co_ci_u32_e32 v11, vcc_lo, v7, v9, vcc_lo
	v_mul_hi_u32 v13, v5, v4
	v_mad_u64_u32 v[9:10], null, v6, v4, 0
	v_mad_u64_u32 v[7:8], null, v5, v11, 0
	;; [unrolled: 1-line block ×3, first 2 shown]
	v_add_co_u32 v4, vcc_lo, v13, v7
	v_add_co_ci_u32_e32 v7, vcc_lo, 0, v8, vcc_lo
	v_add_co_u32 v4, vcc_lo, v4, v9
	v_add_co_ci_u32_e32 v4, vcc_lo, v7, v10, vcc_lo
	v_add_co_ci_u32_e32 v7, vcc_lo, 0, v12, vcc_lo
	v_add_co_u32 v4, vcc_lo, v4, v11
	v_add_co_ci_u32_e32 v9, vcc_lo, 0, v7, vcc_lo
	v_mul_lo_u32 v10, s21, v4
	v_mad_u64_u32 v[7:8], null, s20, v4, 0
	v_mul_lo_u32 v11, s20, v9
	v_sub_co_u32 v7, vcc_lo, v5, v7
	v_add3_u32 v8, v8, v11, v10
	v_sub_nc_u32_e32 v10, v6, v8
	v_subrev_co_ci_u32_e64 v10, s0, s21, v10, vcc_lo
	v_add_co_u32 v11, s0, v4, 2
	v_add_co_ci_u32_e64 v12, s0, 0, v9, s0
	v_sub_co_u32 v13, s0, v7, s20
	v_sub_co_ci_u32_e32 v8, vcc_lo, v6, v8, vcc_lo
	v_subrev_co_ci_u32_e64 v10, s0, 0, v10, s0
	v_cmp_le_u32_e32 vcc_lo, s20, v13
	v_cmp_eq_u32_e64 s0, s21, v8
	v_cndmask_b32_e64 v13, 0, -1, vcc_lo
	v_cmp_le_u32_e32 vcc_lo, s21, v10
	v_cndmask_b32_e64 v14, 0, -1, vcc_lo
	v_cmp_le_u32_e32 vcc_lo, s20, v7
	;; [unrolled: 2-line block ×3, first 2 shown]
	v_cndmask_b32_e64 v15, 0, -1, vcc_lo
	v_cmp_eq_u32_e32 vcc_lo, s21, v10
	v_cndmask_b32_e64 v7, v15, v7, s0
	v_cndmask_b32_e32 v10, v14, v13, vcc_lo
	v_add_co_u32 v13, vcc_lo, v4, 1
	v_add_co_ci_u32_e32 v14, vcc_lo, 0, v9, vcc_lo
	v_cmp_ne_u32_e32 vcc_lo, 0, v10
	v_cndmask_b32_e32 v8, v14, v12, vcc_lo
	v_cndmask_b32_e32 v10, v13, v11, vcc_lo
	v_cmp_ne_u32_e32 vcc_lo, 0, v7
	v_cndmask_b32_e32 v8, v9, v8, vcc_lo
	v_cndmask_b32_e32 v7, v4, v10, vcc_lo
.LBB0_4:                                ;   in Loop: Header=BB0_2 Depth=1
	s_andn2_saveexec_b32 s0, s1
	s_cbranch_execz .LBB0_6
; %bb.5:                                ;   in Loop: Header=BB0_2 Depth=1
	v_cvt_f32_u32_e32 v4, s20
	s_sub_i32 s1, 0, s20
	v_rcp_iflag_f32_e32 v4, v4
	v_mul_f32_e32 v4, 0x4f7ffffe, v4
	v_cvt_u32_f32_e32 v4, v4
	v_mul_lo_u32 v7, s1, v4
	v_mul_hi_u32 v7, v4, v7
	v_add_nc_u32_e32 v4, v4, v7
	v_mul_hi_u32 v4, v5, v4
	v_mul_lo_u32 v7, v4, s20
	v_add_nc_u32_e32 v8, 1, v4
	v_sub_nc_u32_e32 v7, v5, v7
	v_subrev_nc_u32_e32 v9, s20, v7
	v_cmp_le_u32_e32 vcc_lo, s20, v7
	v_cndmask_b32_e32 v7, v7, v9, vcc_lo
	v_cndmask_b32_e32 v4, v4, v8, vcc_lo
	v_cmp_le_u32_e32 vcc_lo, s20, v7
	v_add_nc_u32_e32 v8, 1, v4
	v_cndmask_b32_e32 v7, v4, v8, vcc_lo
	v_mov_b32_e32 v8, v3
.LBB0_6:                                ;   in Loop: Header=BB0_2 Depth=1
	s_or_b32 exec_lo, exec_lo, s0
	s_load_dwordx2 s[0:1], s[6:7], 0x0
	v_mul_lo_u32 v4, v8, s20
	v_mul_lo_u32 v11, v7, s21
	v_mad_u64_u32 v[9:10], null, v7, s20, 0
	s_add_u32 s18, s18, 1
	s_addc_u32 s19, s19, 0
	s_add_u32 s6, s6, 8
	s_addc_u32 s7, s7, 0
	;; [unrolled: 2-line block ×3, first 2 shown]
	v_add3_u32 v4, v10, v11, v4
	v_sub_co_u32 v5, vcc_lo, v5, v9
	v_sub_co_ci_u32_e32 v4, vcc_lo, v6, v4, vcc_lo
	s_waitcnt lgkmcnt(0)
	v_mul_lo_u32 v6, s1, v5
	v_mul_lo_u32 v4, s0, v4
	v_mad_u64_u32 v[1:2], null, s0, v5, v[1:2]
	v_cmp_ge_u64_e64 s0, s[18:19], s[10:11]
	s_and_b32 vcc_lo, exec_lo, s0
	v_add3_u32 v2, v6, v2, v4
	s_cbranch_vccnz .LBB0_9
; %bb.7:                                ;   in Loop: Header=BB0_2 Depth=1
	v_mov_b32_e32 v5, v7
	v_mov_b32_e32 v6, v8
	s_branch .LBB0_2
.LBB0_8:
	v_mov_b32_e32 v8, v6
	v_mov_b32_e32 v7, v5
.LBB0_9:
	s_lshl_b64 s[0:1], s[10:11], 3
	v_mul_hi_u32 v3, 0x183c978, v0
	s_add_u32 s0, s14, s0
	s_addc_u32 s1, s15, s1
	v_mov_b32_e32 v16, 0
	s_load_dwordx2 s[0:1], s[0:1], 0x0
	s_load_dwordx2 s[4:5], s[4:5], 0x20
	v_mov_b32_e32 v17, 0
	v_mov_b32_e32 v28, 0
                                        ; implicit-def: $vgpr23
                                        ; implicit-def: $vgpr19
                                        ; implicit-def: $vgpr13
                                        ; implicit-def: $vgpr11
                                        ; implicit-def: $vgpr27
                                        ; implicit-def: $vgpr25
                                        ; implicit-def: $vgpr21
                                        ; implicit-def: $vgpr15
                                        ; implicit-def: $vgpr9
	v_mul_u32_u24_e32 v3, 0xa9, v3
	v_sub_nc_u32_e32 v29, v0, v3
                                        ; implicit-def: $vgpr3
	s_waitcnt lgkmcnt(0)
	v_mul_lo_u32 v4, s0, v8
	v_mul_lo_u32 v5, s1, v7
	v_mad_u64_u32 v[1:2], null, s0, v7, v[1:2]
	v_cmp_gt_u64_e32 vcc_lo, s[4:5], v[7:8]
                                        ; implicit-def: $vgpr7
	v_add3_u32 v2, v5, v2, v4
                                        ; implicit-def: $vgpr5
	v_lshlrev_b64 v[0:1], 3, v[1:2]
	s_and_saveexec_b32 s1, vcc_lo
	s_cbranch_execz .LBB0_11
; %bb.10:
	v_add_nc_u32_e32 v12, 0xa9, v29
	v_add_nc_u32_e32 v13, 0x152, v29
	v_mad_u64_u32 v[2:3], null, s2, v29, 0
	v_add_nc_u32_e32 v14, 0x1fb, v29
	v_mad_u64_u32 v[4:5], null, s2, v12, 0
	v_mad_u64_u32 v[6:7], null, s2, v13, 0
	;; [unrolled: 1-line block ×3, first 2 shown]
	v_add_nc_u32_e32 v16, 0x2a4, v29
	v_add_co_u32 v36, s0, s12, v0
	v_mad_u64_u32 v[10:11], null, s3, v29, v[3:4]
	v_mad_u64_u32 v[11:12], null, s3, v12, v[5:6]
	v_add_co_ci_u32_e64 v37, s0, s13, v1, s0
	v_add_nc_u32_e32 v26, 0x3f6, v29
	v_add_nc_u32_e32 v28, 0x69a, v29
	v_mov_b32_e32 v3, v10
	v_add_nc_u32_e32 v38, 0x743, v29
	v_mov_b32_e32 v5, v11
	v_mad_u64_u32 v[10:11], null, s3, v13, v[7:8]
	v_lshlrev_b64 v[2:3], 3, v[2:3]
	v_mad_u64_u32 v[24:25], null, s2, v26, 0
	v_lshlrev_b64 v[4:5], 3, v[4:5]
	v_mad_u64_u32 v[32:33], null, s2, v38, 0
	v_mad_u64_u32 v[11:12], null, s3, v14, v[9:10]
	;; [unrolled: 1-line block ×3, first 2 shown]
	v_add_nc_u32_e32 v12, 0x34d, v29
	v_mov_b32_e32 v7, v10
	v_add_co_u32 v2, s0, v36, v2
	v_mov_b32_e32 v9, v11
	v_mad_u64_u32 v[20:21], null, s2, v12, 0
	v_mov_b32_e32 v10, v15
	v_lshlrev_b64 v[6:7], 3, v[6:7]
	v_add_co_ci_u32_e64 v3, s0, v37, v3, s0
	v_add_co_u32 v4, s0, v36, v4
	v_mad_u64_u32 v[10:11], null, s3, v16, v[10:11]
	v_mov_b32_e32 v11, v21
	v_lshlrev_b64 v[8:9], 3, v[8:9]
	v_add_co_ci_u32_e64 v5, s0, v37, v5, s0
	v_add_co_u32 v6, s0, v36, v6
	v_mov_b32_e32 v15, v10
	v_mad_u64_u32 v[10:11], null, s3, v12, v[11:12]
	v_add_co_ci_u32_e64 v7, s0, v37, v7, s0
	v_add_nc_u32_e32 v11, 0x49f, v29
	v_add_co_u32 v8, s0, v36, v8
	v_add_co_ci_u32_e64 v9, s0, v37, v9, s0
	s_clause 0x3
	global_load_dwordx2 v[16:17], v[2:3], off
	global_load_dwordx2 v[22:23], v[4:5], off
	;; [unrolled: 1-line block ×4, first 2 shown]
	v_mad_u64_u32 v[5:6], null, s2, v11, 0
	v_mov_b32_e32 v4, v25
	v_mov_b32_e32 v21, v10
	v_lshlrev_b64 v[2:3], 3, v[14:15]
	v_add_nc_u32_e32 v39, 0x7ec, v29
	v_mad_u64_u32 v[7:8], null, s3, v26, v[4:5]
	v_mov_b32_e32 v4, v6
	v_add_nc_u32_e32 v26, 0x548, v29
	v_lshlrev_b64 v[8:9], 3, v[20:21]
	v_add_co_u32 v2, s0, v36, v2
	v_add_co_ci_u32_e64 v3, s0, v37, v3, s0
	v_mov_b32_e32 v25, v7
	v_mad_u64_u32 v[6:7], null, s3, v11, v[4:5]
	v_mad_u64_u32 v[14:15], null, s2, v26, 0
	v_add_co_u32 v7, s0, v36, v8
	v_add_nc_u32_e32 v11, 0x5f1, v29
	v_add_co_ci_u32_e64 v8, s0, v37, v9, s0
	v_lshlrev_b64 v[9:10], 3, v[24:25]
	v_lshlrev_b64 v[5:6], 3, v[5:6]
	v_mov_b32_e32 v4, v15
	v_mad_u64_u32 v[20:21], null, s2, v11, 0
	v_mad_u64_u32 v[34:35], null, s2, v39, 0
	v_add_co_u32 v24, s0, v36, v9
	v_add_co_ci_u32_e64 v25, s0, v37, v10, s0
	v_mad_u64_u32 v[9:10], null, s3, v26, v[4:5]
	v_mad_u64_u32 v[26:27], null, s2, v28, 0
	v_mov_b32_e32 v4, v21
	v_add_co_u32 v30, s0, v36, v5
	v_add_co_ci_u32_e64 v31, s0, v37, v6, s0
	v_mov_b32_e32 v15, v9
	v_mad_u64_u32 v[9:10], null, s3, v11, v[4:5]
	v_mov_b32_e32 v4, v27
	v_lshlrev_b64 v[14:15], 3, v[14:15]
	v_mad_u64_u32 v[27:28], null, s3, v28, v[4:5]
	s_clause 0x3
	global_load_dwordx2 v[10:11], v[2:3], off
	global_load_dwordx2 v[6:7], v[7:8], off
	;; [unrolled: 1-line block ×4, first 2 shown]
	v_mov_b32_e32 v8, v33
	v_mov_b32_e32 v21, v9
	v_add_co_u32 v14, s0, v36, v14
	v_add_co_ci_u32_e64 v15, s0, v37, v15, s0
	v_mad_u64_u32 v[8:9], null, s3, v38, v[8:9]
	v_mov_b32_e32 v9, v35
	v_lshlrev_b64 v[20:21], 3, v[20:21]
	v_mov_b32_e32 v28, v29
	v_mov_b32_e32 v33, v8
	v_add_co_u32 v20, s0, v36, v20
	v_add_co_ci_u32_e64 v21, s0, v37, v21, s0
	s_waitcnt vmcnt(3)
	v_mad_u64_u32 v[24:25], null, s3, v39, v[9:10]
	v_lshlrev_b64 v[25:26], 3, v[26:27]
	v_lshlrev_b64 v[8:9], 3, v[32:33]
	v_mov_b32_e32 v35, v24
	v_add_co_u32 v24, s0, v36, v25
	v_add_co_ci_u32_e64 v25, s0, v37, v26, s0
	v_lshlrev_b64 v[26:27], 3, v[34:35]
	v_add_co_u32 v30, s0, v36, v8
	v_add_co_ci_u32_e64 v31, s0, v37, v9, s0
	v_add_co_u32 v26, s0, v36, v26
	v_add_co_ci_u32_e64 v27, s0, v37, v27, s0
	s_clause 0x4
	global_load_dwordx2 v[8:9], v[14:15], off
	global_load_dwordx2 v[14:15], v[20:21], off
	;; [unrolled: 1-line block ×5, first 2 shown]
.LBB0_11:
	s_or_b32 exec_lo, exec_lo, s1
	v_add_f32_e32 v30, v22, v16
	v_add_f32_e32 v31, v23, v17
	s_waitcnt vmcnt(0)
	v_sub_f32_e32 v33, v23, v27
	v_add_f32_e32 v35, v23, v27
	v_add_f32_e32 v32, v22, v26
	;; [unrolled: 1-line block ×4, first 2 shown]
	v_sub_f32_e32 v34, v22, v26
	v_mul_f32_e32 v22, 0xbeedf032, v33
	v_mul_f32_e32 v36, 0xbf52af12, v33
	v_add_f32_e32 v23, v12, v30
	v_add_f32_e32 v30, v13, v31
	v_mul_f32_e32 v31, 0xbeedf032, v34
	v_mul_f32_e32 v37, 0xbf52af12, v34
	v_fmamk_f32 v41, v32, 0x3f62ad3f, v22
	v_add_f32_e32 v23, v10, v23
	v_add_f32_e32 v30, v11, v30
	v_fma_f32 v22, 0x3f62ad3f, v32, -v22
	v_mul_f32_e32 v39, 0xbf7e222b, v34
	v_fma_f32 v42, 0x3f62ad3f, v35, -v31
	v_add_f32_e32 v23, v6, v23
	v_add_f32_e32 v30, v7, v30
	v_fmac_f32_e32 v31, 0x3f62ad3f, v35
	v_fmamk_f32 v43, v32, 0x3f116cb1, v36
	v_fma_f32 v44, 0x3f116cb1, v35, -v37
	v_add_f32_e32 v23, v2, v23
	v_add_f32_e32 v30, v3, v30
	v_add_f32_e32 v47, v22, v16
	v_fma_f32 v46, 0x3df6dbef, v35, -v39
	v_sub_f32_e32 v53, v19, v25
	v_add_f32_e32 v23, v4, v23
	v_add_f32_e32 v30, v5, v30
	v_mul_f32_e32 v38, 0xbf7e222b, v33
	v_mul_f32_e32 v40, 0xbf6f5d39, v33
	v_add_f32_e32 v55, v18, v24
	v_add_f32_e32 v23, v8, v23
	;; [unrolled: 1-line block ×3, first 2 shown]
	v_mul_f32_e32 v56, 0xbf52af12, v53
	v_fma_f32 v36, 0x3f116cb1, v32, -v36
	v_fmamk_f32 v45, v32, 0x3df6dbef, v38
	v_add_f32_e32 v23, v14, v23
	v_add_f32_e32 v30, v15, v30
	v_fma_f32 v38, 0x3df6dbef, v32, -v38
	v_add_f32_e32 v41, v41, v16
	v_sub_f32_e32 v18, v18, v24
	v_add_f32_e32 v22, v20, v23
	v_add_f32_e32 v23, v21, v30
	;; [unrolled: 1-line block ×13, first 2 shown]
	v_mul_f32_e32 v46, 0xbf29c268, v33
	v_mul_f32_e32 v33, 0xbe750f2a, v33
	v_fmamk_f32 v26, v32, 0xbeb58ec6, v40
	v_fma_f32 v40, 0xbeb58ec6, v32, -v40
	v_mul_f32_e32 v44, 0xbf6f5d39, v34
	v_fmamk_f32 v50, v32, 0xbf3f9e67, v46
	v_fma_f32 v46, 0xbf3f9e67, v32, -v46
	v_fmamk_f32 v52, v32, 0xbf788fa5, v33
	v_fma_f32 v24, 0xbf788fa5, v32, -v33
	v_fmamk_f32 v32, v55, 0x3f116cb1, v56
	v_add_f32_e32 v26, v26, v16
	v_mul_f32_e32 v49, 0xbf29c268, v34
	v_add_f32_e32 v40, v40, v16
	v_add_f32_e32 v50, v50, v16
	v_mul_f32_e32 v34, 0xbe750f2a, v34
	v_add_f32_e32 v46, v46, v16
	v_add_f32_e32 v52, v52, v16
	;; [unrolled: 1-line block ×3, first 2 shown]
	v_mul_f32_e32 v25, 0xbf52af12, v18
	v_add_f32_e32 v16, v24, v16
	v_add_f32_e32 v24, v32, v41
	v_mul_f32_e32 v32, 0xbf6f5d39, v53
	v_fmac_f32_e32 v37, 0x3f116cb1, v35
	v_fmac_f32_e32 v39, 0x3df6dbef, v35
	v_fma_f32 v48, 0xbeb58ec6, v35, -v44
	v_fmac_f32_e32 v44, 0xbeb58ec6, v35
	v_fma_f32 v51, 0xbf3f9e67, v35, -v49
	;; [unrolled: 2-line block ×4, first 2 shown]
	v_fmac_f32_e32 v25, 0x3f116cb1, v19
	v_mul_f32_e32 v35, 0xbf6f5d39, v18
	v_fmamk_f32 v41, v55, 0xbeb58ec6, v32
	v_add_f32_e32 v42, v42, v17
	v_fma_f32 v32, 0xbeb58ec6, v55, -v32
	v_add_f32_e32 v25, v25, v30
	v_fma_f32 v30, 0xbeb58ec6, v19, -v35
	v_add_f32_e32 v31, v41, v31
	v_mul_f32_e32 v41, 0xbe750f2a, v53
	v_add_f32_e32 v37, v37, v17
	v_add_f32_e32 v33, v33, v42
	v_fmac_f32_e32 v35, 0xbeb58ec6, v19
	v_add_f32_e32 v30, v30, v43
	v_mul_f32_e32 v42, 0xbe750f2a, v18
	v_fmamk_f32 v43, v55, 0xbf788fa5, v41
	v_add_f32_e32 v32, v32, v36
	v_mul_f32_e32 v36, 0x3f29c268, v53
	v_fma_f32 v41, 0xbf788fa5, v55, -v41
	v_add_f32_e32 v39, v39, v17
	v_add_f32_e32 v48, v48, v17
	;; [unrolled: 1-line block ×7, first 2 shown]
	v_fma_f32 v34, 0x3f116cb1, v55, -v56
	v_add_f32_e32 v35, v35, v37
	v_fma_f32 v37, 0xbf788fa5, v19, -v42
	v_add_f32_e32 v43, v43, v45
	v_fmamk_f32 v45, v55, 0xbf3f9e67, v36
	v_add_f32_e32 v38, v41, v38
	v_mul_f32_e32 v41, 0x3f7e222b, v53
	v_add_f32_e32 v34, v34, v47
	v_fmac_f32_e32 v42, 0xbf788fa5, v19
	v_add_f32_e32 v27, v37, v27
	v_mul_f32_e32 v37, 0x3f29c268, v18
	v_add_f32_e32 v26, v45, v26
	v_fma_f32 v36, 0xbf3f9e67, v55, -v36
	v_mul_f32_e32 v45, 0x3f7e222b, v18
	v_fmamk_f32 v47, v55, 0x3df6dbef, v41
	v_fma_f32 v41, 0x3df6dbef, v55, -v41
	v_add_f32_e32 v39, v42, v39
	v_fma_f32 v42, 0xbf3f9e67, v19, -v37
	v_fmac_f32_e32 v37, 0xbf3f9e67, v19
	v_add_f32_e32 v36, v36, v40
	v_fma_f32 v40, 0x3df6dbef, v19, -v45
	v_fmac_f32_e32 v45, 0x3df6dbef, v19
	v_add_f32_e32 v41, v41, v46
	v_sub_f32_e32 v46, v13, v21
	v_add_f32_e32 v37, v37, v44
	v_add_f32_e32 v44, v47, v50
	v_mul_f32_e32 v47, 0x3eedf032, v53
	v_add_f32_e32 v40, v40, v51
	v_mul_f32_e32 v18, 0x3eedf032, v18
	v_add_f32_e32 v45, v45, v49
	v_add_f32_e32 v49, v12, v20
	v_mul_f32_e32 v51, 0xbf7e222b, v46
	v_sub_f32_e32 v12, v12, v20
	v_fma_f32 v50, 0x3f62ad3f, v19, -v18
	v_fma_f32 v20, 0x3f62ad3f, v55, -v47
	v_fmac_f32_e32 v18, 0x3f62ad3f, v19
	v_fmamk_f32 v19, v49, 0x3df6dbef, v51
	v_add_f32_e32 v13, v13, v21
	v_mul_f32_e32 v21, 0xbf7e222b, v12
	v_add_f32_e32 v42, v42, v48
	v_fmamk_f32 v48, v55, 0x3f62ad3f, v47
	v_add_f32_e32 v16, v20, v16
	v_add_f32_e32 v17, v18, v17
	;; [unrolled: 1-line block ×3, first 2 shown]
	v_mul_f32_e32 v19, 0xbe750f2a, v46
	v_fma_f32 v20, 0x3df6dbef, v13, -v21
	v_fmac_f32_e32 v21, 0x3df6dbef, v13
	v_mul_f32_e32 v47, 0xbe750f2a, v12
	v_fma_f32 v24, 0x3df6dbef, v49, -v51
	v_fmamk_f32 v51, v49, 0xbf788fa5, v19
	v_add_f32_e32 v20, v20, v33
	v_add_f32_e32 v21, v21, v25
	v_fma_f32 v25, 0xbf788fa5, v13, -v47
	v_mul_f32_e32 v33, 0x3f6f5d39, v46
	v_fma_f32 v19, 0xbf788fa5, v49, -v19
	v_fmac_f32_e32 v47, 0xbf788fa5, v13
	v_add_f32_e32 v24, v24, v34
	v_add_f32_e32 v25, v25, v30
	v_mul_f32_e32 v30, 0x3f6f5d39, v12
	v_fmamk_f32 v34, v49, 0xbeb58ec6, v33
	v_add_f32_e32 v19, v19, v32
	v_add_f32_e32 v32, v47, v35
	v_mul_f32_e32 v35, 0x3eedf032, v46
	v_fma_f32 v33, 0xbeb58ec6, v49, -v33
	v_fma_f32 v47, 0xbeb58ec6, v13, -v30
	v_add_f32_e32 v34, v34, v43
	v_add_f32_e32 v31, v51, v31
	v_fmamk_f32 v43, v49, 0x3f62ad3f, v35
	v_add_f32_e32 v33, v33, v38
	v_mul_f32_e32 v38, 0xbf52af12, v46
	v_fmac_f32_e32 v30, 0xbeb58ec6, v13
	v_add_f32_e32 v27, v47, v27
	v_mul_f32_e32 v47, 0x3eedf032, v12
	v_add_f32_e32 v26, v43, v26
	v_fma_f32 v35, 0x3f62ad3f, v49, -v35
	v_mul_f32_e32 v43, 0xbf52af12, v12
	v_fmamk_f32 v51, v49, 0x3f116cb1, v38
	v_fma_f32 v38, 0x3f116cb1, v49, -v38
	v_add_f32_e32 v30, v30, v39
	v_fma_f32 v39, 0x3f62ad3f, v13, -v47
	v_fmac_f32_e32 v47, 0x3f62ad3f, v13
	v_add_f32_e32 v35, v35, v36
	v_fma_f32 v36, 0x3f116cb1, v13, -v43
	v_fmac_f32_e32 v43, 0x3f116cb1, v13
	v_add_f32_e32 v38, v38, v41
	v_sub_f32_e32 v41, v11, v15
	v_add_f32_e32 v39, v39, v42
	v_add_f32_e32 v37, v47, v37
	;; [unrolled: 1-line block ×3, first 2 shown]
	v_mul_f32_e32 v44, 0xbf29c268, v46
	v_mul_f32_e32 v12, 0xbf29c268, v12
	v_add_f32_e32 v43, v43, v45
	v_add_f32_e32 v45, v10, v14
	v_mul_f32_e32 v47, 0xbf6f5d39, v41
	v_sub_f32_e32 v10, v10, v14
	v_fma_f32 v46, 0xbf3f9e67, v13, -v12
	v_fma_f32 v14, 0xbf3f9e67, v49, -v44
	v_fmac_f32_e32 v12, 0xbf3f9e67, v13
	v_fmamk_f32 v13, v45, 0xbeb58ec6, v47
	v_add_f32_e32 v11, v11, v15
	v_mul_f32_e32 v15, 0xbf6f5d39, v10
	v_add_f32_e32 v36, v36, v40
	v_fmamk_f32 v40, v49, 0xbf3f9e67, v44
	v_add_f32_e32 v14, v14, v16
	v_add_f32_e32 v12, v12, v17
	;; [unrolled: 1-line block ×3, first 2 shown]
	v_mul_f32_e32 v16, 0x3f29c268, v41
	v_fma_f32 v17, 0xbeb58ec6, v11, -v15
	v_fma_f32 v18, 0xbeb58ec6, v45, -v47
	v_mul_f32_e32 v44, 0x3f29c268, v10
	v_fmac_f32_e32 v15, 0xbeb58ec6, v11
	v_fmamk_f32 v47, v45, 0xbf3f9e67, v16
	v_add_f32_e32 v17, v17, v20
	v_add_f32_e32 v18, v18, v24
	v_fma_f32 v20, 0xbf3f9e67, v11, -v44
	v_mul_f32_e32 v24, 0x3eedf032, v41
	v_fma_f32 v16, 0xbf3f9e67, v45, -v16
	v_fmac_f32_e32 v44, 0xbf3f9e67, v11
	v_add_f32_e32 v15, v15, v21
	v_add_f32_e32 v21, v47, v31
	;; [unrolled: 1-line block ×3, first 2 shown]
	v_mul_f32_e32 v25, 0x3eedf032, v10
	v_fmamk_f32 v31, v45, 0x3f62ad3f, v24
	v_add_f32_e32 v16, v16, v19
	v_add_f32_e32 v19, v44, v32
	v_mul_f32_e32 v32, 0xbf7e222b, v41
	v_fma_f32 v44, 0x3f62ad3f, v11, -v25
	v_add_f32_e32 v31, v31, v34
	v_fmac_f32_e32 v25, 0x3f62ad3f, v11
	v_add_f32_e32 v48, v48, v52
	v_fmamk_f32 v34, v45, 0x3df6dbef, v32
	v_fma_f32 v32, 0x3df6dbef, v45, -v32
	v_fma_f32 v24, 0x3f62ad3f, v45, -v24
	v_add_f32_e32 v25, v25, v30
	v_mul_f32_e32 v30, 0x3e750f2a, v41
	v_add_f32_e32 v26, v34, v26
	v_mul_f32_e32 v34, 0x3e750f2a, v10
	;; [unrolled: 2-line block ×3, first 2 shown]
	v_fmamk_f32 v47, v45, 0xbf788fa5, v30
	v_fma_f32 v30, 0xbf788fa5, v45, -v30
	v_fma_f32 v35, 0xbf788fa5, v11, -v34
	v_add_f32_e32 v40, v40, v48
	v_add_f32_e32 v27, v44, v27
	v_mul_f32_e32 v44, 0xbf7e222b, v10
	v_fmac_f32_e32 v34, 0xbf788fa5, v11
	v_add_f32_e32 v35, v35, v36
	v_fmamk_f32 v36, v45, 0x3f116cb1, v41
	v_add_f32_e32 v30, v30, v38
	v_sub_f32_e32 v38, v7, v9
	v_add_f32_e32 v24, v24, v33
	v_fma_f32 v33, 0x3df6dbef, v11, -v44
	v_mul_f32_e32 v10, 0x3f52af12, v10
	v_add_f32_e32 v34, v34, v43
	v_add_f32_e32 v36, v36, v40
	;; [unrolled: 1-line block ×3, first 2 shown]
	v_mul_f32_e32 v43, 0xbf29c268, v38
	v_sub_f32_e32 v6, v6, v8
	v_fmac_f32_e32 v44, 0x3df6dbef, v11
	v_add_f32_e32 v33, v33, v39
	v_add_f32_e32 v39, v47, v42
	v_fma_f32 v42, 0x3f116cb1, v11, -v10
	v_fmac_f32_e32 v10, 0x3f116cb1, v11
	v_fmamk_f32 v11, v40, 0xbf3f9e67, v43
	v_add_f32_e32 v7, v7, v9
	v_mul_f32_e32 v9, 0xbf29c268, v6
	v_fma_f32 v8, 0x3f116cb1, v45, -v41
	v_mul_f32_e32 v41, 0x3f7e222b, v6
	v_add_f32_e32 v11, v11, v13
	v_add_f32_e32 v10, v10, v12
	v_fma_f32 v13, 0xbf3f9e67, v7, -v9
	v_fmac_f32_e32 v9, 0xbf3f9e67, v7
	v_add_f32_e32 v8, v8, v14
	v_mul_f32_e32 v12, 0x3f7e222b, v38
	v_fma_f32 v14, 0xbf3f9e67, v40, -v43
	v_add_f32_e32 v13, v13, v17
	v_add_f32_e32 v9, v9, v15
	v_fma_f32 v15, 0x3df6dbef, v7, -v41
	v_fmamk_f32 v43, v40, 0x3df6dbef, v12
	v_add_f32_e32 v14, v14, v18
	v_mul_f32_e32 v18, 0xbf52af12, v38
	v_fma_f32 v12, 0x3df6dbef, v40, -v12
	v_fmac_f32_e32 v41, 0x3df6dbef, v7
	v_add_f32_e32 v15, v15, v20
	v_mul_f32_e32 v20, 0xbf52af12, v6
	v_add_f32_e32 v17, v43, v21
	v_fmamk_f32 v21, v40, 0x3f116cb1, v18
	v_add_f32_e32 v12, v12, v16
	v_add_f32_e32 v16, v41, v19
	v_mul_f32_e32 v19, 0x3e750f2a, v38
	v_fma_f32 v41, 0x3f116cb1, v7, -v20
	v_add_f32_e32 v21, v21, v31
	v_fma_f32 v18, 0x3f116cb1, v40, -v18
	v_fmac_f32_e32 v20, 0x3f116cb1, v7
	v_fmamk_f32 v31, v40, 0xbf788fa5, v19
	v_add_f32_e32 v27, v41, v27
	v_mul_f32_e32 v41, 0x3e750f2a, v6
	v_add_f32_e32 v50, v50, v54
	v_add_f32_e32 v18, v18, v24
	;; [unrolled: 1-line block ×4, first 2 shown]
	v_mul_f32_e32 v25, 0x3eedf032, v38
	v_fma_f32 v26, 0xbf788fa5, v7, -v41
	v_mul_f32_e32 v31, 0x3eedf032, v6
	v_add_f32_e32 v46, v46, v50
	v_add_f32_e32 v37, v44, v37
	v_fma_f32 v19, 0xbf788fa5, v40, -v19
	v_fmac_f32_e32 v41, 0xbf788fa5, v7
	v_fmamk_f32 v43, v40, 0x3f62ad3f, v25
	v_add_f32_e32 v26, v26, v33
	v_fma_f32 v33, 0x3f62ad3f, v7, -v31
	v_mul_f32_e32 v38, 0xbf6f5d39, v38
	v_mul_f32_e32 v6, 0xbf6f5d39, v6
	v_fma_f32 v25, 0x3f62ad3f, v40, -v25
	v_add_f32_e32 v42, v42, v46
	v_add_f32_e32 v19, v19, v32
	;; [unrolled: 1-line block ×5, first 2 shown]
	v_fmac_f32_e32 v31, 0x3f62ad3f, v7
	v_fmamk_f32 v35, v40, 0xbeb58ec6, v38
	v_fma_f32 v39, 0xbeb58ec6, v7, -v6
	v_add_f32_e32 v25, v25, v30
	v_sub_f32_e32 v30, v3, v5
	v_add_f32_e32 v31, v31, v34
	v_add_f32_e32 v34, v35, v36
	;; [unrolled: 1-line block ×4, first 2 shown]
	v_mul_f32_e32 v39, 0xbe750f2a, v30
	v_sub_f32_e32 v2, v2, v4
	v_fma_f32 v4, 0xbeb58ec6, v40, -v38
	v_fmac_f32_e32 v6, 0xbeb58ec6, v7
	v_add_f32_e32 v3, v3, v5
	v_fmamk_f32 v5, v36, 0xbf788fa5, v39
	v_mul_f32_e32 v7, 0xbe750f2a, v2
	v_add_f32_e32 v8, v4, v8
	v_add_f32_e32 v6, v6, v10
	v_mul_f32_e32 v4, 0x3eedf032, v30
	v_add_f32_e32 v5, v5, v11
	v_fma_f32 v10, 0xbf788fa5, v3, -v7
	v_fma_f32 v11, 0xbf788fa5, v36, -v39
	v_fmac_f32_e32 v7, 0xbf788fa5, v3
	v_mul_f32_e32 v39, 0x3eedf032, v2
	v_fmamk_f32 v38, v36, 0x3f62ad3f, v4
	v_add_f32_e32 v40, v10, v13
	v_add_f32_e32 v10, v11, v14
	;; [unrolled: 1-line block ×3, first 2 shown]
	v_fma_f32 v9, 0x3f62ad3f, v3, -v39
	v_mul_f32_e32 v11, 0xbf29c268, v30
	v_fma_f32 v4, 0x3f62ad3f, v36, -v4
	v_mul_f32_e32 v13, 0xbf29c268, v2
	v_mul_f32_e32 v14, 0x3f52af12, v30
	v_add_f32_e32 v15, v9, v15
	v_fmamk_f32 v9, v36, 0xbf3f9e67, v11
	v_add_f32_e32 v12, v4, v12
	v_fma_f32 v4, 0xbf3f9e67, v3, -v13
	v_fma_f32 v11, 0xbf3f9e67, v36, -v11
	v_fmac_f32_e32 v13, 0xbf3f9e67, v3
	v_add_f32_e32 v7, v38, v17
	v_add_f32_e32 v9, v9, v21
	;; [unrolled: 1-line block ×3, first 2 shown]
	v_fmamk_f32 v4, v36, 0x3f116cb1, v14
	v_mul_f32_e32 v21, 0x3f52af12, v2
	v_add_f32_e32 v11, v11, v18
	v_add_f32_e32 v18, v13, v20
	v_mul_f32_e32 v13, 0xbf6f5d39, v30
	v_add_f32_e32 v20, v4, v24
	v_fma_f32 v4, 0x3f116cb1, v3, -v21
	v_fma_f32 v14, 0x3f116cb1, v36, -v14
	v_fmac_f32_e32 v21, 0x3f116cb1, v3
	v_fmamk_f32 v24, v36, 0xbeb58ec6, v13
	v_mul_f32_e32 v27, 0xbf6f5d39, v2
	v_add_f32_e32 v26, v4, v26
	v_add_f32_e32 v14, v14, v19
	v_add_f32_e32 v19, v21, v32
	v_add_f32_e32 v21, v24, v37
	v_fma_f32 v4, 0xbeb58ec6, v3, -v27
	v_fma_f32 v13, 0xbeb58ec6, v36, -v13
	v_fmac_f32_e32 v27, 0xbeb58ec6, v3
	v_mul_f32_e32 v24, 0x3f7e222b, v30
	v_mul_f32_e32 v2, 0x3f7e222b, v2
	v_add_f32_e32 v30, v4, v33
	v_add_f32_e32 v13, v13, v25
	;; [unrolled: 1-line block ×3, first 2 shown]
	v_fmamk_f32 v27, v36, 0x3df6dbef, v24
	v_fma_f32 v31, 0x3df6dbef, v3, -v2
	v_fma_f32 v24, 0x3df6dbef, v36, -v24
	v_fmac_f32_e32 v2, 0x3df6dbef, v3
	v_mad_u32_u24 v4, v29, 52, 0
	v_fmac_f32_e32 v39, 0x3f62ad3f, v3
	v_add_f32_e32 v3, v27, v34
	v_add_f32_e32 v8, v24, v8
	;; [unrolled: 1-line block ×3, first 2 shown]
	v_and_b32_e32 v2, 0xff, v29
	ds_write2_b32 v4, v23, v5 offset1:1
	ds_write2_b32 v4, v7, v9 offset0:2 offset1:3
	ds_write2_b32 v4, v20, v21 offset0:4 offset1:5
	;; [unrolled: 1-line block ×4, first 2 shown]
	v_mad_i32_i24 v5, 0xffffffd0, v29, v4
	ds_write2_b32 v4, v11, v12 offset0:10 offset1:11
	ds_write_b32 v4, v10 offset:48
	v_mov_b32_e32 v20, 12
	v_mul_lo_u16 v2, 0x4f, v2
	s_waitcnt lgkmcnt(0)
	v_add_nc_u32_e32 v7, 0xa00, v5
	v_add_nc_u32_e32 v11, 0x1400, v5
	;; [unrolled: 1-line block ×3, first 2 shown]
	v_lshrrev_b16 v2, 10, v2
	v_add_nc_u32_e32 v10, 0xf00, v5
	v_add_nc_u32_e32 v14, 0x1a00, v5
	s_barrier
	buffer_gl0_inv
	v_mul_lo_u16 v3, v2, 13
	ds_read2_b32 v[42:43], v5 offset1:169
	ds_read2_b32 v[8:9], v6 offset0:82 offset1:251
	ds_read2_b32 v[12:13], v7 offset0:36 offset1:205
	;; [unrolled: 1-line block ×5, first 2 shown]
	ds_read_b32 v60, v5 offset:8112
	s_waitcnt lgkmcnt(0)
	v_sub_nc_u16 v3, v29, v3
	s_barrier
	buffer_gl0_inv
	ds_write2_b32 v4, v22, v40 offset1:1
	ds_write2_b32 v4, v15, v17 offset0:2 offset1:3
	v_add_f32_e32 v27, v31, v35
	v_mul_u32_u24_sdwa v15, v3, v20 dst_sel:DWORD dst_unused:UNUSED_PAD src0_sel:BYTE_0 src1_sel:DWORD
	v_add_f32_e32 v16, v39, v16
	ds_write2_b32 v4, v26, v30 offset0:4 offset1:5
	ds_write2_b32 v4, v27, v24 offset0:6 offset1:7
	;; [unrolled: 1-line block ×4, first 2 shown]
	ds_write_b32 v4, v41 offset:48
	v_lshlrev_b32_e32 v27, 3, v15
	s_waitcnt lgkmcnt(0)
	s_barrier
	buffer_gl0_inv
	s_clause 0x5
	global_load_dwordx4 v[15:18], v27, s[8:9]
	global_load_dwordx4 v[19:22], v27, s[8:9] offset:16
	global_load_dwordx4 v[23:26], v27, s[8:9] offset:32
	;; [unrolled: 1-line block ×5, first 2 shown]
	ds_read2_b32 v[50:51], v5 offset1:169
	ds_read2_b32 v[52:53], v6 offset0:82 offset1:251
	ds_read2_b32 v[54:55], v7 offset0:36 offset1:205
	;; [unrolled: 1-line block ×4, first 2 shown]
	s_waitcnt vmcnt(5) lgkmcnt(4)
	v_mul_f32_e32 v27, v51, v16
	s_waitcnt lgkmcnt(3)
	v_mul_f32_e32 v61, v52, v18
	v_mul_f32_e32 v16, v43, v16
	;; [unrolled: 1-line block ×3, first 2 shown]
	s_waitcnt vmcnt(4) lgkmcnt(2)
	v_mul_f32_e32 v62, v54, v22
	v_fmac_f32_e32 v27, v43, v15
	v_mul_f32_e32 v43, v53, v20
	v_fmac_f32_e32 v61, v8, v17
	v_mul_f32_e32 v8, v9, v20
	v_fma_f32 v16, v51, v15, -v16
	v_fma_f32 v20, v52, v17, -v18
	v_fmac_f32_e32 v43, v9, v19
	v_mul_f32_e32 v9, v12, v22
	v_fma_f32 v22, v53, v19, -v8
	ds_read2_b32 v[51:52], v14 offset0:26 offset1:195
	ds_read_b32 v53, v5 offset:8112
	s_waitcnt vmcnt(3)
	v_mul_f32_e32 v15, v55, v24
	v_fmac_f32_e32 v62, v12, v21
	v_mul_f32_e32 v12, v13, v24
	s_waitcnt lgkmcnt(3)
	v_mul_f32_e32 v8, v56, v26
	v_fma_f32 v21, v54, v21, -v9
	v_mul_f32_e32 v18, v44, v26
	v_fmac_f32_e32 v15, v13, v23
	s_waitcnt vmcnt(2)
	v_mul_f32_e32 v9, v57, v31
	v_mul_f32_e32 v13, v45, v31
	v_fma_f32 v17, v55, v23, -v12
	v_fmac_f32_e32 v8, v44, v25
	v_fma_f32 v12, v56, v25, -v18
	v_fmac_f32_e32 v9, v45, v30
	s_waitcnt vmcnt(1) lgkmcnt(2)
	v_mul_f32_e32 v23, v59, v35
	v_fma_f32 v13, v57, v30, -v13
	s_waitcnt vmcnt(0)
	v_mul_f32_e32 v24, v60, v41
	v_mul_f32_e32 v25, v47, v35
	;; [unrolled: 1-line block ×4, first 2 shown]
	s_waitcnt lgkmcnt(0)
	v_mul_f32_e32 v30, v53, v41
	v_fmac_f32_e32 v23, v47, v34
	v_fma_f32 v24, v53, v40, -v24
	v_fma_f32 v25, v59, v34, -v25
	v_mul_f32_e32 v33, v52, v39
	v_fmac_f32_e32 v30, v60, v40
	v_mul_f32_e32 v34, v49, v39
	v_fmac_f32_e32 v18, v46, v32
	v_fma_f32 v19, v58, v32, -v19
	v_mul_f32_e32 v26, v51, v37
	v_mul_f32_e32 v31, v48, v37
	v_sub_f32_e32 v32, v16, v24
	v_add_f32_e32 v35, v27, v30
	v_add_f32_e32 v37, v16, v24
	v_fmac_f32_e32 v33, v49, v38
	v_fma_f32 v34, v52, v38, -v34
	v_sub_f32_e32 v38, v27, v30
	v_add_f32_e32 v27, v42, v27
	v_add_f32_e32 v16, v50, v16
	v_fmac_f32_e32 v26, v48, v36
	v_fma_f32 v31, v51, v36, -v31
	v_mul_f32_e32 v36, 0xbeedf032, v32
	v_add_f32_e32 v27, v27, v61
	v_add_f32_e32 v16, v16, v20
	v_mul_f32_e32 v41, 0xbf52af12, v32
	v_mul_f32_e32 v47, 0xbf7e222b, v32
	;; [unrolled: 1-line block ×3, first 2 shown]
	v_add_f32_e32 v27, v27, v43
	v_add_f32_e32 v16, v16, v22
	v_mul_f32_e32 v55, 0xbf29c268, v32
	v_mul_f32_e32 v32, 0xbe750f2a, v32
	v_fmamk_f32 v39, v35, 0x3f62ad3f, v36
	v_add_f32_e32 v27, v27, v62
	v_add_f32_e32 v16, v16, v21
	v_mul_f32_e32 v40, 0x3f62ad3f, v37
	v_fma_f32 v36, 0x3f62ad3f, v35, -v36
	v_fmamk_f32 v45, v35, 0x3f116cb1, v41
	v_add_f32_e32 v27, v27, v15
	v_add_f32_e32 v16, v16, v17
	v_mul_f32_e32 v46, 0x3f116cb1, v37
	v_fma_f32 v41, 0x3f116cb1, v35, -v41
	;; [unrolled: 5-line block ×3, first 2 shown]
	v_fmamk_f32 v54, v35, 0xbeb58ec6, v52
	v_fma_f32 v52, 0xbeb58ec6, v35, -v52
	v_fmamk_f32 v56, v35, 0xbf3f9e67, v55
	v_mul_f32_e32 v57, 0xbeb58ec6, v37
	v_fma_f32 v55, 0xbf3f9e67, v35, -v55
	v_fmamk_f32 v58, v35, 0xbf788fa5, v32
	v_fma_f32 v32, 0xbf788fa5, v35, -v32
	v_mul_f32_e32 v35, 0xbf3f9e67, v37
	v_add_f32_e32 v27, v27, v9
	v_add_f32_e32 v16, v16, v13
	;; [unrolled: 1-line block ×3, first 2 shown]
	v_fmamk_f32 v44, v38, 0x3eedf032, v40
	v_add_f32_e32 v36, v42, v36
	v_add_f32_e32 v45, v42, v45
	v_fmamk_f32 v48, v38, 0x3f52af12, v46
	v_add_f32_e32 v41, v42, v41
	v_add_f32_e32 v49, v42, v49
	v_fmamk_f32 v53, v38, 0x3f7e222b, v51
	v_add_f32_e32 v47, v42, v47
	v_add_f32_e32 v54, v42, v54
	v_add_f32_e32 v52, v42, v52
	v_add_f32_e32 v56, v42, v56
	;; [unrolled: 1-line block ×4, first 2 shown]
	v_mul_f32_e32 v37, 0xbf788fa5, v37
	v_add_f32_e32 v32, v42, v32
	v_add_f32_e32 v27, v27, v18
	;; [unrolled: 1-line block ×3, first 2 shown]
	v_fmamk_f32 v42, v38, 0x3f6f5d39, v57
	v_fmac_f32_e32 v57, 0xbf6f5d39, v38
	v_fmamk_f32 v59, v38, 0x3f29c268, v35
	v_fmac_f32_e32 v40, 0xbeedf032, v38
	v_fmac_f32_e32 v46, 0xbf52af12, v38
	;; [unrolled: 1-line block ×3, first 2 shown]
	v_add_f32_e32 v27, v27, v23
	v_add_f32_e32 v16, v16, v25
	v_fmac_f32_e32 v35, 0xbf29c268, v38
	v_fmamk_f32 v60, v38, 0x3e750f2a, v37
	v_fmac_f32_e32 v37, 0xbe750f2a, v38
	v_add_f32_e32 v38, v50, v44
	v_add_f32_e32 v44, v50, v48
	;; [unrolled: 1-line block ×5, first 2 shown]
	v_sub_f32_e32 v59, v20, v34
	v_add_f32_e32 v27, v27, v26
	v_add_f32_e32 v16, v16, v31
	;; [unrolled: 1-line block ×4, first 2 shown]
	v_mul_f32_e32 v65, 0xbf52af12, v59
	v_add_f32_e32 v20, v27, v33
	v_add_f32_e32 v16, v16, v34
	v_sub_f32_e32 v27, v61, v33
	v_mul_f32_e32 v33, 0x3f116cb1, v63
	v_fmamk_f32 v34, v64, 0x3f116cb1, v65
	v_add_f32_e32 v40, v50, v40
	v_add_f32_e32 v20, v20, v30
	v_add_f32_e32 v16, v16, v24
	v_fmamk_f32 v24, v27, 0x3f52af12, v33
	v_add_f32_e32 v30, v34, v39
	v_mul_f32_e32 v34, 0xbf6f5d39, v59
	v_fmac_f32_e32 v33, 0xbf52af12, v27
	v_add_f32_e32 v46, v50, v46
	v_add_f32_e32 v51, v50, v51
	;; [unrolled: 1-line block ×6, first 2 shown]
	v_fma_f32 v39, 0x3f116cb1, v64, -v65
	v_mul_f32_e32 v50, 0xbeb58ec6, v63
	v_add_f32_e32 v24, v24, v38
	v_fmamk_f32 v38, v64, 0xbeb58ec6, v34
	v_add_f32_e32 v33, v33, v40
	v_mul_f32_e32 v40, 0xbe750f2a, v59
	v_add_f32_e32 v36, v39, v36
	v_fmamk_f32 v39, v27, 0x3f6f5d39, v50
	v_add_f32_e32 v38, v38, v45
	v_fma_f32 v34, 0xbeb58ec6, v64, -v34
	v_fmac_f32_e32 v50, 0xbf6f5d39, v27
	v_mul_f32_e32 v45, 0xbf788fa5, v63
	v_fmamk_f32 v61, v64, 0xbf788fa5, v40
	v_add_f32_e32 v39, v39, v44
	v_add_f32_e32 v34, v34, v41
	;; [unrolled: 1-line block ×3, first 2 shown]
	v_fmamk_f32 v44, v27, 0x3e750f2a, v45
	v_add_f32_e32 v46, v61, v49
	v_mul_f32_e32 v49, 0x3f29c268, v59
	v_fma_f32 v40, 0xbf788fa5, v64, -v40
	v_fmac_f32_e32 v45, 0xbe750f2a, v27
	v_mul_f32_e32 v50, 0xbf3f9e67, v63
	v_add_f32_e32 v44, v44, v48
	v_fmamk_f32 v48, v64, 0xbf3f9e67, v49
	v_add_f32_e32 v40, v40, v47
	v_add_f32_e32 v45, v45, v51
	v_fmamk_f32 v47, v27, 0xbf29c268, v50
	v_mul_f32_e32 v51, 0x3f7e222b, v59
	v_add_f32_e32 v48, v48, v54
	v_fma_f32 v49, 0xbf3f9e67, v64, -v49
	v_mul_f32_e32 v54, 0x3df6dbef, v63
	v_fmac_f32_e32 v50, 0x3f29c268, v27
	v_fmamk_f32 v61, v64, 0x3df6dbef, v51
	v_add_f32_e32 v42, v47, v42
	v_add_f32_e32 v47, v49, v52
	v_fmamk_f32 v49, v27, 0xbf7e222b, v54
	v_add_f32_e32 v50, v50, v53
	v_mul_f32_e32 v53, 0x3eedf032, v59
	v_fma_f32 v51, 0x3df6dbef, v64, -v51
	v_add_f32_e32 v52, v61, v56
	v_add_f32_e32 v49, v49, v57
	v_mul_f32_e32 v56, 0x3f62ad3f, v63
	v_fmac_f32_e32 v54, 0x3f7e222b, v27
	v_fmamk_f32 v57, v64, 0x3f62ad3f, v53
	v_add_f32_e32 v51, v51, v55
	v_sub_f32_e32 v55, v22, v31
	v_add_f32_e32 v22, v22, v31
	v_fmamk_f32 v59, v27, 0xbeedf032, v56
	v_add_f32_e32 v35, v54, v35
	v_add_f32_e32 v54, v57, v58
	;; [unrolled: 1-line block ×3, first 2 shown]
	v_mul_f32_e32 v58, 0xbf7e222b, v55
	v_fma_f32 v31, 0x3f62ad3f, v64, -v53
	v_fmac_f32_e32 v56, 0x3eedf032, v27
	v_sub_f32_e32 v26, v43, v26
	v_mul_f32_e32 v43, 0x3df6dbef, v22
	v_fmamk_f32 v27, v57, 0x3df6dbef, v58
	v_add_f32_e32 v31, v31, v32
	v_add_f32_e32 v32, v56, v37
	v_mul_f32_e32 v56, 0xbf788fa5, v22
	v_fmamk_f32 v37, v26, 0x3f7e222b, v43
	v_add_f32_e32 v27, v27, v30
	v_mul_f32_e32 v30, 0xbe750f2a, v55
	v_fmac_f32_e32 v43, 0xbf7e222b, v26
	v_fma_f32 v53, 0x3df6dbef, v57, -v58
	v_add_f32_e32 v24, v37, v24
	v_fmamk_f32 v37, v26, 0x3e750f2a, v56
	v_fmamk_f32 v58, v57, 0xbf788fa5, v30
	v_add_f32_e32 v33, v43, v33
	v_mul_f32_e32 v43, 0x3f6f5d39, v55
	v_fma_f32 v30, 0xbf788fa5, v57, -v30
	v_fmac_f32_e32 v56, 0xbe750f2a, v26
	v_add_f32_e32 v37, v37, v39
	v_mul_f32_e32 v39, 0xbeb58ec6, v22
	v_add_f32_e32 v36, v53, v36
	v_fmamk_f32 v53, v57, 0xbeb58ec6, v43
	v_add_f32_e32 v30, v30, v34
	v_add_f32_e32 v34, v56, v41
	v_mul_f32_e32 v41, 0x3eedf032, v55
	v_fmamk_f32 v56, v26, 0xbf6f5d39, v39
	v_fmac_f32_e32 v39, 0x3f6f5d39, v26
	v_add_f32_e32 v46, v53, v46
	v_fma_f32 v43, 0xbeb58ec6, v57, -v43
	v_fmamk_f32 v53, v57, 0x3f62ad3f, v41
	v_add_f32_e32 v44, v56, v44
	v_mul_f32_e32 v56, 0x3f62ad3f, v22
	v_add_f32_e32 v39, v39, v45
	v_mul_f32_e32 v45, 0xbf52af12, v55
	v_add_f32_e32 v38, v58, v38
	v_add_f32_e32 v40, v43, v40
	;; [unrolled: 1-line block ×3, first 2 shown]
	v_fmamk_f32 v48, v26, 0xbeedf032, v56
	v_fma_f32 v41, 0x3f62ad3f, v57, -v41
	v_mul_f32_e32 v53, 0x3f116cb1, v22
	v_fmac_f32_e32 v56, 0x3eedf032, v26
	v_fmamk_f32 v58, v57, 0x3f116cb1, v45
	v_add_f32_e32 v42, v48, v42
	v_add_f32_e32 v41, v41, v47
	v_fmamk_f32 v47, v26, 0x3f52af12, v53
	v_add_f32_e32 v48, v56, v50
	v_add_f32_e32 v50, v58, v52
	v_mul_f32_e32 v52, 0xbf29c268, v55
	v_fma_f32 v45, 0x3f116cb1, v57, -v45
	v_add_f32_e32 v47, v47, v49
	v_fmac_f32_e32 v53, 0xbf52af12, v26
	v_mul_f32_e32 v22, 0xbf3f9e67, v22
	v_fmamk_f32 v49, v57, 0xbf3f9e67, v52
	v_add_f32_e32 v45, v45, v51
	v_sub_f32_e32 v51, v21, v25
	v_add_f32_e32 v35, v53, v35
	v_add_f32_e32 v53, v62, v23
	;; [unrolled: 1-line block ×4, first 2 shown]
	v_mul_f32_e32 v54, 0xbf6f5d39, v51
	v_fmamk_f32 v55, v26, 0x3f29c268, v22
	v_fma_f32 v25, 0xbf3f9e67, v57, -v52
	v_fmac_f32_e32 v22, 0xbf29c268, v26
	v_sub_f32_e32 v23, v62, v23
	v_fmamk_f32 v26, v53, 0xbeb58ec6, v54
	v_mul_f32_e32 v52, 0xbeb58ec6, v21
	v_add_f32_e32 v25, v25, v31
	v_add_f32_e32 v22, v22, v32
	v_fma_f32 v32, 0xbeb58ec6, v53, -v54
	v_add_f32_e32 v26, v26, v27
	v_mul_f32_e32 v27, 0x3f29c268, v51
	v_fmamk_f32 v31, v23, 0x3f6f5d39, v52
	v_fmac_f32_e32 v52, 0xbf6f5d39, v23
	v_mul_f32_e32 v54, 0xbf3f9e67, v21
	v_add_f32_e32 v59, v59, v60
	v_fmamk_f32 v56, v53, 0xbf3f9e67, v27
	v_add_f32_e32 v24, v31, v24
	v_add_f32_e32 v31, v32, v36
	;; [unrolled: 1-line block ×3, first 2 shown]
	v_fmamk_f32 v33, v23, 0xbf29c268, v54
	v_add_f32_e32 v36, v56, v38
	v_mul_f32_e32 v38, 0x3eedf032, v51
	v_fma_f32 v27, 0xbf3f9e67, v53, -v27
	v_fmac_f32_e32 v54, 0x3f29c268, v23
	v_add_f32_e32 v33, v33, v37
	v_mul_f32_e32 v37, 0x3f62ad3f, v21
	v_fmamk_f32 v52, v53, 0x3f62ad3f, v38
	v_add_f32_e32 v27, v27, v30
	v_add_f32_e32 v30, v54, v34
	v_mul_f32_e32 v34, 0xbf7e222b, v51
	v_fmamk_f32 v54, v23, 0xbeedf032, v37
	v_fma_f32 v38, 0x3f62ad3f, v53, -v38
	v_add_f32_e32 v46, v52, v46
	v_fmac_f32_e32 v37, 0x3eedf032, v23
	v_fmamk_f32 v52, v53, 0x3df6dbef, v34
	v_add_f32_e32 v44, v54, v44
	v_mul_f32_e32 v54, 0x3df6dbef, v21
	v_add_f32_e32 v38, v38, v40
	v_mul_f32_e32 v40, 0x3e750f2a, v51
	v_add_f32_e32 v37, v37, v39
	v_add_f32_e32 v39, v52, v43
	v_fmamk_f32 v43, v23, 0x3f7e222b, v54
	v_fma_f32 v34, 0x3df6dbef, v53, -v34
	v_mul_f32_e32 v52, 0xbf788fa5, v21
	v_fmac_f32_e32 v54, 0xbf7e222b, v23
	v_fmamk_f32 v56, v53, 0xbf788fa5, v40
	v_add_f32_e32 v42, v43, v42
	v_add_f32_e32 v34, v34, v41
	v_fmamk_f32 v41, v23, 0xbe750f2a, v52
	v_add_f32_e32 v43, v54, v48
	v_add_f32_e32 v48, v56, v50
	v_mul_f32_e32 v50, 0x3f52af12, v51
	v_fma_f32 v40, 0xbf788fa5, v53, -v40
	v_add_f32_e32 v41, v41, v47
	v_fmac_f32_e32 v52, 0x3e750f2a, v23
	v_mul_f32_e32 v21, 0x3f116cb1, v21
	v_fmamk_f32 v47, v53, 0x3f116cb1, v50
	v_add_f32_e32 v40, v40, v45
	v_sub_f32_e32 v45, v17, v19
	v_add_f32_e32 v35, v52, v35
	v_add_f32_e32 v17, v17, v19
	;; [unrolled: 1-line block ×4, first 2 shown]
	v_mul_f32_e32 v52, 0xbf29c268, v45
	v_fmamk_f32 v51, v23, 0xbf52af12, v21
	v_fma_f32 v19, 0x3f116cb1, v53, -v50
	v_fmac_f32_e32 v21, 0x3f52af12, v23
	v_sub_f32_e32 v15, v15, v18
	v_fmamk_f32 v23, v49, 0xbf3f9e67, v52
	v_mul_f32_e32 v18, 0xbf3f9e67, v17
	v_add_f32_e32 v19, v19, v25
	v_add_f32_e32 v21, v21, v22
	v_mul_f32_e32 v50, 0x3df6dbef, v17
	v_add_f32_e32 v22, v23, v26
	v_fmamk_f32 v25, v15, 0x3f29c268, v18
	v_fma_f32 v26, 0xbf3f9e67, v49, -v52
	v_mul_f32_e32 v23, 0x3f7e222b, v45
	v_fmac_f32_e32 v18, 0xbf29c268, v15
	v_add_f32_e32 v55, v55, v59
	v_add_f32_e32 v24, v25, v24
	;; [unrolled: 1-line block ×3, first 2 shown]
	v_fmamk_f32 v26, v15, 0xbf7e222b, v50
	v_fmamk_f32 v52, v49, 0x3df6dbef, v23
	v_add_f32_e32 v18, v18, v32
	v_mul_f32_e32 v32, 0xbf52af12, v45
	v_fma_f32 v23, 0x3df6dbef, v49, -v23
	v_fmac_f32_e32 v50, 0x3f7e222b, v15
	v_add_f32_e32 v26, v26, v33
	v_mul_f32_e32 v33, 0x3f116cb1, v17
	v_add_f32_e32 v31, v52, v36
	v_fmamk_f32 v36, v49, 0x3f116cb1, v32
	v_add_f32_e32 v23, v23, v27
	v_add_f32_e32 v27, v50, v30
	v_mul_f32_e32 v30, 0x3e750f2a, v45
	v_fmamk_f32 v50, v15, 0x3f52af12, v33
	v_add_f32_e32 v36, v36, v46
	v_fma_f32 v32, 0x3f116cb1, v49, -v32
	v_fmac_f32_e32 v33, 0xbf52af12, v15
	v_fmamk_f32 v46, v49, 0xbf788fa5, v30
	v_add_f32_e32 v44, v50, v44
	v_mul_f32_e32 v50, 0xbf788fa5, v17
	v_add_f32_e32 v32, v32, v38
	v_add_f32_e32 v33, v33, v37
	;; [unrolled: 1-line block ×3, first 2 shown]
	v_mul_f32_e32 v38, 0x3eedf032, v45
	v_fmamk_f32 v39, v15, 0xbe750f2a, v50
	v_mul_f32_e32 v46, 0x3f62ad3f, v17
	v_fma_f32 v30, 0xbf788fa5, v49, -v30
	v_fmac_f32_e32 v50, 0x3e750f2a, v15
	v_fmamk_f32 v52, v49, 0x3f62ad3f, v38
	v_add_f32_e32 v39, v39, v42
	v_fmamk_f32 v42, v15, 0xbeedf032, v46
	v_mul_f32_e32 v45, 0xbf6f5d39, v45
	v_mul_f32_e32 v17, 0xbeb58ec6, v17
	v_fma_f32 v38, 0x3f62ad3f, v49, -v38
	v_add_f32_e32 v51, v51, v55
	v_add_f32_e32 v30, v30, v34
	;; [unrolled: 1-line block ×5, first 2 shown]
	v_fmac_f32_e32 v46, 0x3eedf032, v15
	v_fmamk_f32 v42, v49, 0xbeb58ec6, v45
	v_fmamk_f32 v48, v15, 0x3f6f5d39, v17
	v_add_f32_e32 v38, v38, v40
	v_sub_f32_e32 v40, v12, v13
	v_add_f32_e32 v35, v46, v35
	v_add_f32_e32 v42, v42, v47
	;; [unrolled: 1-line block ×4, first 2 shown]
	v_mul_f32_e32 v48, 0xbe750f2a, v40
	v_add_f32_e32 v12, v12, v13
	v_fma_f32 v13, 0xbeb58ec6, v49, -v45
	v_fmac_f32_e32 v17, 0xbf6f5d39, v15
	v_sub_f32_e32 v45, v8, v9
	v_fmamk_f32 v8, v47, 0xbf788fa5, v48
	v_mul_f32_e32 v9, 0xbf788fa5, v12
	v_mul_f32_e32 v15, 0x3eedf032, v40
	v_add_f32_e32 v13, v13, v19
	v_add_f32_e32 v17, v17, v21
	;; [unrolled: 1-line block ×3, first 2 shown]
	v_fmamk_f32 v19, v45, 0x3e750f2a, v9
	v_fma_f32 v21, 0xbf788fa5, v47, -v48
	v_fmac_f32_e32 v9, 0xbe750f2a, v45
	v_fmamk_f32 v22, v47, 0x3f62ad3f, v15
	v_mul_f32_e32 v48, 0x3f62ad3f, v12
	v_add_f32_e32 v19, v19, v24
	v_mul_f32_e32 v24, 0xbf29c268, v40
	v_add_f32_e32 v18, v9, v18
	v_add_f32_e32 v9, v22, v31
	v_fmamk_f32 v22, v45, 0xbeedf032, v48
	v_add_f32_e32 v21, v21, v25
	v_fma_f32 v15, 0x3f62ad3f, v47, -v15
	v_mul_f32_e32 v25, 0xbf3f9e67, v12
	v_fmac_f32_e32 v48, 0x3eedf032, v45
	v_add_f32_e32 v22, v22, v26
	v_fmamk_f32 v26, v47, 0xbf3f9e67, v24
	v_add_f32_e32 v15, v15, v23
	v_fmamk_f32 v23, v45, 0x3f29c268, v25
	v_fma_f32 v24, 0xbf3f9e67, v47, -v24
	v_mul_f32_e32 v31, 0x3f52af12, v40
	v_add_f32_e32 v26, v26, v36
	v_mul_f32_e32 v36, 0x3f116cb1, v12
	v_add_f32_e32 v27, v48, v27
	v_add_f32_e32 v23, v23, v44
	v_add_f32_e32 v24, v24, v32
	v_fmac_f32_e32 v25, 0xbf29c268, v45
	v_fmamk_f32 v32, v47, 0x3f116cb1, v31
	v_mul_f32_e32 v44, 0xbf6f5d39, v40
	v_fmamk_f32 v48, v45, 0xbf52af12, v36
	v_mul_f32_e32 v40, 0x3f7e222b, v40
	v_add_f32_e32 v25, v25, v33
	v_add_f32_e32 v32, v32, v37
	v_fmamk_f32 v33, v47, 0xbeb58ec6, v44
	v_add_f32_e32 v37, v48, v39
	v_fma_f32 v39, 0xbeb58ec6, v47, -v44
	v_mov_b32_e32 v44, 0x2a4
	v_mov_b32_e32 v48, 2
	v_fma_f32 v31, 0x3f116cb1, v47, -v31
	v_mul_f32_e32 v49, 0x3df6dbef, v12
	v_add_f32_e32 v38, v39, v38
	v_fmamk_f32 v39, v47, 0x3df6dbef, v40
	v_mul_u32_u24_sdwa v2, v2, v44 dst_sel:DWORD dst_unused:UNUSED_PAD src0_sel:WORD_0 src1_sel:DWORD
	v_lshlrev_b32_sdwa v3, v48, v3 dst_sel:DWORD dst_unused:UNUSED_PAD src0_sel:DWORD src1_sel:BYTE_0
	v_add_f32_e32 v30, v31, v30
	v_mul_f32_e32 v31, 0xbeb58ec6, v12
	v_fma_f32 v12, 0x3df6dbef, v47, -v40
	v_add_f32_e32 v39, v39, v42
	v_add3_u32 v42, 0, v2, v3
	v_add_f32_e32 v33, v33, v43
	v_add_f32_e32 v2, v12, v13
	s_barrier
	buffer_gl0_inv
	ds_write2_b32 v42, v20, v8 offset1:13
	ds_write2_b32 v42, v9, v26 offset0:26 offset1:39
	ds_write2_b32 v42, v32, v33 offset0:52 offset1:65
	;; [unrolled: 1-line block ×5, first 2 shown]
	ds_write_b32 v42, v21 offset:624
	s_waitcnt lgkmcnt(0)
	s_barrier
	buffer_gl0_inv
	ds_read2_b32 v[2:3], v5 offset1:169
	ds_read2_b32 v[12:13], v6 offset0:82 offset1:251
	ds_read2_b32 v[8:9], v7 offset0:36 offset1:205
	;; [unrolled: 1-line block ×5, first 2 shown]
	ds_read_b32 v21, v5 offset:8112
	v_fmamk_f32 v43, v45, 0x3f6f5d39, v31
	v_fmamk_f32 v40, v45, 0xbf7e222b, v49
	v_fmac_f32_e32 v49, 0x3f7e222b, v45
	v_fmac_f32_e32 v36, 0x3f52af12, v45
	;; [unrolled: 1-line block ×3, first 2 shown]
	v_add_f32_e32 v20, v43, v41
	v_add_f32_e32 v26, v40, v46
	;; [unrolled: 1-line block ×5, first 2 shown]
	s_waitcnt lgkmcnt(0)
	s_barrier
	buffer_gl0_inv
	ds_write2_b32 v42, v16, v19 offset1:13
	ds_write2_b32 v42, v22, v23 offset0:26 offset1:39
	ds_write2_b32 v42, v37, v20 offset0:52 offset1:65
	;; [unrolled: 1-line block ×5, first 2 shown]
	ds_write_b32 v42, v18 offset:624
	s_waitcnt lgkmcnt(0)
	s_barrier
	buffer_gl0_inv
	s_and_saveexec_b32 s0, vcc_lo
	s_cbranch_execz .LBB0_13
; %bb.12:
	v_mul_u32_u24_e32 v5, 12, v29
	v_lshlrev_b32_e32 v5, 3, v5
	s_clause 0x5
	global_load_dwordx4 v[22:25], v5, s[8:9] offset:1328
	global_load_dwordx4 v[30:33], v5, s[8:9] offset:1248
	;; [unrolled: 1-line block ×6, first 2 shown]
	v_mul_i32_i24_e32 v5, 0xffffffd0, v29
	v_add_nc_u32_e32 v16, v4, v5
	v_add_nc_u32_e32 v17, 0x400, v16
	v_add_nc_u32_e32 v18, 0x1a00, v16
	ds_read2_b32 v[4:5], v16 offset1:169
	ds_read_b32 v20, v16 offset:8112
	ds_read2_b32 v[35:36], v17 offset0:82 offset1:251
	ds_read2_b32 v[47:48], v18 offset0:26 offset1:195
	v_add_nc_u32_e32 v17, 0xa00, v16
	v_add_nc_u32_e32 v18, 0x1400, v16
	;; [unrolled: 1-line block ×3, first 2 shown]
	ds_read2_b32 v[59:60], v17 offset0:36 offset1:205
	ds_read2_b32 v[61:62], v18 offset0:72 offset1:241
	;; [unrolled: 1-line block ×3, first 2 shown]
	s_waitcnt vmcnt(5)
	v_mul_f32_e32 v27, v21, v25
	s_waitcnt vmcnt(4)
	v_mul_f32_e32 v37, v3, v31
	s_waitcnt lgkmcnt(6)
	v_mul_f32_e32 v49, v5, v31
	s_waitcnt lgkmcnt(5)
	v_mul_f32_e32 v16, v20, v25
	v_mul_f32_e32 v25, v12, v33
	s_waitcnt lgkmcnt(4)
	v_mul_f32_e32 v38, v35, v33
	;; [unrolled: 3-line block ×3, first 2 shown]
	s_waitcnt vmcnt(3)
	v_mul_f32_e32 v65, v14, v42
	s_waitcnt vmcnt(2)
	v_mul_f32_e32 v66, v13, v44
	v_mul_f32_e32 v33, v36, v44
	;; [unrolled: 1-line block ×5, first 2 shown]
	s_waitcnt lgkmcnt(1)
	v_mul_f32_e32 v19, v62, v40
	s_waitcnt vmcnt(1)
	v_mul_f32_e32 v40, v10, v54
	v_mul_f32_e32 v23, v61, v54
	;; [unrolled: 1-line block ×3, first 2 shown]
	s_waitcnt lgkmcnt(0)
	v_mul_f32_e32 v26, v64, v52
	v_fma_f32 v52, v5, v30, -v37
	v_fma_f32 v20, v20, v24, -v27
	v_mul_f32_e32 v34, v59, v46
	v_fmac_f32_e32 v49, v3, v30
	v_fma_f32 v46, v35, v32, -v25
	v_fmac_f32_e32 v16, v21, v24
	v_fma_f32 v21, v48, v22, -v50
	;; [unrolled: 2-line block ×3, first 2 shown]
	v_fma_f32 v24, v62, v39, -v42
	v_fma_f32 v35, v59, v45, -v44
	v_add_f32_e32 v47, v20, v52
	v_sub_f32_e32 v50, v52, v20
	v_add_f32_e32 v52, v4, v52
	s_waitcnt vmcnt(0)
	v_mul_f32_e32 v67, v9, v56
	v_mul_f32_e32 v31, v60, v56
	;; [unrolled: 1-line block ×4, first 2 shown]
	v_fmac_f32_e32 v38, v12, v32
	v_fma_f32 v36, v36, v43, -v66
	v_fma_f32 v25, v61, v53, -v40
	v_fmac_f32_e32 v23, v10, v53
	v_fma_f32 v27, v64, v51, -v54
	v_fmac_f32_e32 v26, v7, v51
	v_sub_f32_e32 v15, v49, v16
	v_add_f32_e32 v48, v21, v46
	v_add_f32_e32 v37, v24, v35
	;; [unrolled: 1-line block ×3, first 2 shown]
	v_sub_f32_e32 v51, v46, v21
	v_add_f32_e32 v49, v2, v49
	v_mul_f32_e32 v53, 0xbf788fa5, v47
	v_add_f32_e32 v46, v52, v46
	v_fmac_f32_e32 v33, v13, v43
	v_fmac_f32_e32 v18, v14, v41
	;; [unrolled: 1-line block ×4, first 2 shown]
	v_fma_f32 v32, v60, v55, -v67
	v_fmac_f32_e32 v31, v9, v55
	v_fma_f32 v30, v63, v57, -v56
	v_fmac_f32_e32 v29, v6, v57
	v_sub_f32_e32 v12, v38, v17
	v_add_f32_e32 v40, v22, v36
	v_add_f32_e32 v9, v17, v38
	v_sub_f32_e32 v45, v36, v22
	v_sub_f32_e32 v39, v35, v24
	v_mul_f32_e32 v54, 0x3f62ad3f, v48
	v_mul_f32_e32 v55, 0xbe750f2a, v50
	;; [unrolled: 1-line block ×7, first 2 shown]
	v_add_f32_e32 v38, v49, v38
	v_mul_f32_e32 v106, 0xbf3f9e67, v37
	v_mul_f32_e32 v108, 0xbeb58ec6, v37
	v_fmamk_f32 v37, v15, 0x3e750f2a, v53
	v_add_f32_e32 v36, v46, v36
	v_sub_f32_e32 v11, v33, v18
	v_add_f32_e32 v8, v18, v33
	v_add_f32_e32 v41, v27, v30
	v_mul_f32_e32 v56, 0xbf3f9e67, v40
	v_mul_f32_e32 v58, 0x3eedf032, v51
	;; [unrolled: 1-line block ×15, first 2 shown]
	v_fmamk_f32 v39, v10, 0xbf788fa5, v55
	v_fmamk_f32 v40, v12, 0xbeedf032, v54
	v_add_f32_e32 v33, v38, v33
	v_add_f32_e32 v37, v4, v37
	;; [unrolled: 1-line block ×3, first 2 shown]
	v_fmamk_f32 v36, v15, 0x3f7e222b, v89
	v_sub_f32_e32 v6, v34, v19
	v_add_f32_e32 v3, v19, v34
	v_mul_f32_e32 v63, 0x3df6dbef, v41
	v_mul_f32_e32 v65, 0xbf3f9e67, v47
	;; [unrolled: 1-line block ×11, first 2 shown]
	v_fmamk_f32 v41, v9, 0x3f62ad3f, v58
	v_add_f32_e32 v33, v33, v34
	v_fmamk_f32 v34, v12, 0x3e750f2a, v90
	v_add_f32_e32 v39, v2, v39
	v_add_f32_e32 v37, v37, v40
	v_fmamk_f32 v40, v10, 0x3df6dbef, v91
	v_add_f32_e32 v36, v4, v36
	v_mul_f32_e32 v66, 0x3df6dbef, v48
	v_mul_f32_e32 v78, 0xbf3f9e67, v48
	v_mul_f32_e32 v52, 0xbeb58ec6, v48
	v_mul_f32_e32 v48, 0x3f116cb1, v48
	v_add_f32_e32 v39, v39, v41
	v_fmamk_f32 v41, v9, 0xbf788fa5, v92
	v_add_f32_e32 v40, v2, v40
	v_add_f32_e32 v34, v36, v34
	v_fmamk_f32 v36, v15, 0x3eedf032, v47
	v_mul_f32_e32 v59, 0xbf29c268, v45
	v_fmamk_f32 v120, v15, 0x3f6f5d39, v77
	v_add_f32_e32 v40, v40, v41
	v_fmamk_f32 v41, v12, 0x3f52af12, v48
	v_add_f32_e32 v36, v4, v36
	v_mul_f32_e32 v67, 0xbf29c268, v50
	v_fmamk_f32 v116, v15, 0x3f29c268, v65
	v_fmamk_f32 v121, v12, 0xbf29c268, v78
	v_add_f32_e32 v120, v4, v120
	v_add_f32_e32 v36, v36, v41
	v_fmamk_f32 v41, v8, 0xbf3f9e67, v59
	v_add_f32_e32 v42, v25, v32
	v_mul_f32_e32 v68, 0x3f7e222b, v51
	v_mul_f32_e32 v79, 0xbf6f5d39, v50
	;; [unrolled: 1-line block ×3, first 2 shown]
	v_fmamk_f32 v117, v12, 0xbf7e222b, v66
	v_fmamk_f32 v118, v10, 0xbf3f9e67, v67
	v_add_f32_e32 v116, v4, v116
	v_add_f32_e32 v120, v120, v121
	v_fmac_f32_e32 v53, 0xbe750f2a, v15
	v_add_f32_e32 v39, v39, v41
	v_fmamk_f32 v41, v11, 0xbeedf032, v81
	v_mul_f32_e32 v61, 0xbeb58ec6, v42
	v_mul_f32_e32 v70, 0xbf52af12, v45
	;; [unrolled: 1-line block ×9, first 2 shown]
	v_fmamk_f32 v42, v11, 0x3f29c268, v56
	v_fmamk_f32 v119, v9, 0x3df6dbef, v68
	;; [unrolled: 1-line block ×3, first 2 shown]
	v_add_f32_e32 v118, v2, v118
	v_add_f32_e32 v116, v116, v117
	v_fmamk_f32 v117, v15, 0x3f52af12, v49
	v_fmac_f32_e32 v54, 0x3eedf032, v12
	v_add_f32_e32 v53, v4, v53
	v_fma_f32 v55, 0xbf788fa5, v10, -v55
	v_add_f32_e32 v41, v120, v41
	v_fmamk_f32 v120, v8, 0xbeb58ec6, v94
	v_sub_f32_e32 v14, v31, v23
	v_add_f32_e32 v5, v23, v31
	v_mul_f32_e32 v82, 0x3eedf032, v45
	v_mul_f32_e32 v102, 0xbf6f5d39, v51
	;; [unrolled: 1-line block ×3, first 2 shown]
	v_fmamk_f32 v38, v9, 0xbf3f9e67, v80
	v_add_f32_e32 v118, v118, v119
	v_fmamk_f32 v119, v12, 0x3f6f5d39, v52
	v_add_f32_e32 v46, v2, v46
	;; [unrolled: 2-line block ×3, first 2 shown]
	v_add_f32_e32 v53, v53, v54
	v_fmac_f32_e32 v65, 0xbf29c268, v15
	v_fma_f32 v58, 0x3f62ad3f, v9, -v58
	v_fma_f32 v67, 0xbf3f9e67, v10, -v67
	v_add_f32_e32 v55, v2, v55
	v_add_f32_e32 v31, v33, v31
	v_fmamk_f32 v33, v11, 0x3f52af12, v69
	v_add_f32_e32 v37, v37, v42
	v_fmamk_f32 v42, v8, 0x3f116cb1, v70
	;; [unrolled: 2-line block ×3, first 2 shown]
	v_fmac_f32_e32 v56, 0xbf29c268, v11
	v_mul_f32_e32 v51, 0xbf52af12, v51
	v_mul_f32_e32 v104, 0xbe750f2a, v45
	v_add_f32_e32 v38, v46, v38
	v_fmamk_f32 v46, v9, 0xbeb58ec6, v102
	v_add_f32_e32 v121, v2, v121
	v_add_f32_e32 v117, v117, v119
	v_fmamk_f32 v119, v10, 0x3f62ad3f, v50
	v_fmac_f32_e32 v66, 0x3f7e222b, v12
	v_add_f32_e32 v65, v4, v65
	v_fma_f32 v68, 0x3df6dbef, v9, -v68
	v_add_f32_e32 v67, v2, v67
	v_add_f32_e32 v55, v55, v58
	;; [unrolled: 1-line block ×3, first 2 shown]
	v_fmamk_f32 v116, v8, 0x3f62ad3f, v82
	v_add_f32_e32 v42, v118, v42
	v_fmamk_f32 v118, v11, 0xbf6f5d39, v93
	v_add_f32_e32 v36, v36, v120
	v_fmamk_f32 v120, v3, 0xbf788fa5, v72
	v_fma_f32 v59, 0xbf3f9e67, v8, -v59
	v_add_f32_e32 v53, v53, v56
	v_fmamk_f32 v56, v6, 0x3f7e222b, v83
	v_sub_f32_e32 v44, v32, v25
	v_mul_f32_e32 v45, 0xbf7e222b, v45
	v_add_f32_e32 v46, v121, v46
	v_fmamk_f32 v121, v9, 0x3f116cb1, v51
	v_add_f32_e32 v119, v2, v119
	v_add_f32_e32 v65, v65, v66
	v_add_f32_e32 v67, v67, v68
	v_add_f32_e32 v32, v35, v32
	v_add_f32_e32 v38, v38, v116
	v_fmamk_f32 v116, v11, 0x3e750f2a, v103
	v_add_f32_e32 v34, v34, v118
	v_fmamk_f32 v118, v8, 0xbf788fa5, v104
	v_fmac_f32_e32 v69, 0xbf52af12, v11
	v_fma_f32 v70, 0x3f116cb1, v8, -v70
	v_add_f32_e32 v55, v55, v59
	v_fmamk_f32 v59, v3, 0x3df6dbef, v84
	v_add_f32_e32 v42, v42, v120
	v_fmamk_f32 v120, v6, 0xbeedf032, v95
	;; [unrolled: 2-line block ×3, first 2 shown]
	v_sub_f32_e32 v43, v30, v27
	v_mul_f32_e32 v86, 0x3e750f2a, v44
	v_mul_f32_e32 v98, 0xbf52af12, v44
	;; [unrolled: 1-line block ×3, first 2 shown]
	v_add_f32_e32 v119, v119, v121
	v_fmamk_f32 v121, v6, 0xbf52af12, v57
	v_fmamk_f32 v54, v3, 0x3f116cb1, v60
	v_add_f32_e32 v116, v117, v116
	v_fmamk_f32 v117, v8, 0x3df6dbef, v45
	v_add_f32_e32 v46, v46, v118
	;; [unrolled: 2-line block ×3, first 2 shown]
	v_add_f32_e32 v67, v67, v70
	v_add_f32_e32 v30, v32, v30
	;; [unrolled: 1-line block ×3, first 2 shown]
	v_fmamk_f32 v59, v6, 0xbf29c268, v106
	v_add_f32_e32 v34, v34, v120
	v_fmamk_f32 v120, v3, 0xbf3f9e67, v107
	v_add_f32_e32 v40, v40, v56
	v_fmamk_f32 v56, v6, 0x3f6f5d39, v108
	v_fmac_f32_e32 v57, 0x3f52af12, v6
	v_fma_f32 v60, 0x3f116cb1, v3, -v60
	v_fmac_f32_e32 v71, 0x3e750f2a, v6
	v_fma_f32 v72, 0xbf788fa5, v3, -v72
	v_sub_f32_e32 v13, v29, v26
	v_add_f32_e32 v7, v26, v29
	v_mul_f32_e32 v62, 0xbf6f5d39, v44
	v_mul_f32_e32 v74, 0x3eedf032, v44
	;; [unrolled: 1-line block ×4, first 2 shown]
	v_fmamk_f32 v58, v14, 0x3f6f5d39, v61
	v_add_f32_e32 v117, v119, v117
	v_fmamk_f32 v119, v14, 0xbeedf032, v73
	v_fmamk_f32 v32, v14, 0xbe750f2a, v85
	v_add_f32_e32 v29, v31, v29
	v_fmamk_f32 v31, v5, 0xbf788fa5, v86
	v_add_f32_e32 v37, v37, v121
	v_add_f32_e32 v33, v33, v118
	;; [unrolled: 1-line block ×3, first 2 shown]
	v_fmamk_f32 v116, v3, 0xbeb58ec6, v109
	v_add_f32_e32 v46, v46, v120
	v_add_f32_e32 v36, v36, v56
	v_fmamk_f32 v56, v5, 0x3f116cb1, v98
	v_add_f32_e32 v53, v53, v57
	v_add_f32_e32 v55, v55, v60
	v_fmamk_f32 v60, v14, 0xbf7e222b, v110
	v_add_f32_e32 v65, v65, v71
	v_fmamk_f32 v71, v5, 0x3df6dbef, v111
	;; [unrolled: 2-line block ×3, first 2 shown]
	v_add_f32_e32 v27, v27, v30
	v_fmac_f32_e32 v61, 0xbf6f5d39, v14
	v_fmac_f32_e32 v77, 0xbf6f5d39, v15
	v_fma_f32 v79, 0xbeb58ec6, v10, -v79
	v_fmamk_f32 v68, v13, 0xbf7e222b, v63
	v_fmamk_f32 v70, v13, 0x3f6f5d39, v75
	v_add_f32_e32 v116, v117, v116
	v_fmamk_f32 v57, v7, 0xbf3f9e67, v100
	v_fmamk_f32 v30, v5, 0xbf3f9e67, v44
	v_add_f32_e32 v26, v26, v29
	v_fmamk_f32 v122, v13, 0xbeedf032, v113
	v_add_f32_e32 v29, v37, v58
	;; [unrolled: 2-line block ×3, first 2 shown]
	v_fmac_f32_e32 v63, 0x3f7e222b, v13
	v_fmac_f32_e32 v78, 0x3f29c268, v12
	v_fma_f32 v80, 0xbf3f9e67, v9, -v80
	v_add_f32_e32 v77, v4, v77
	v_add_f32_e32 v79, v2, v79
	;; [unrolled: 1-line block ×19, first 2 shown]
	v_fmac_f32_e32 v81, 0x3eedf032, v11
	v_add_f32_e32 v46, v79, v80
	v_fma_f32 v53, 0x3f62ad3f, v8, -v82
	v_add_f32_e32 v19, v19, v23
	v_add_f32_e32 v22, v22, v24
	;; [unrolled: 1-line block ×3, first 2 shown]
	v_fmac_f32_e32 v83, 0xbf7e222b, v6
	v_add_f32_e32 v24, v46, v53
	v_fma_f32 v27, 0x3df6dbef, v3, -v84
	v_mul_f32_e32 v88, 0x3f52af12, v43
	v_add_f32_e32 v18, v18, v19
	v_add_f32_e32 v19, v21, v22
	;; [unrolled: 1-line block ×3, first 2 shown]
	v_fmac_f32_e32 v85, 0x3e750f2a, v14
	v_add_f32_e32 v22, v24, v27
	v_fma_f32 v23, 0xbf788fa5, v5, -v86
	v_fmac_f32_e32 v89, 0xbf7e222b, v15
	v_add_f32_e32 v18, v17, v18
	v_add_f32_e32 v17, v20, v19
	;; [unrolled: 1-line block ×4, first 2 shown]
	v_fma_f32 v21, 0x3f116cb1, v7, -v88
	v_add_f32_e32 v22, v4, v89
	v_fmac_f32_e32 v90, 0xbe750f2a, v12
	v_fma_f32 v23, 0x3df6dbef, v10, -v91
	v_add_f32_e32 v16, v16, v18
	v_add_f32_e32 v18, v20, v21
	v_fmac_f32_e32 v93, 0x3f6f5d39, v11
	v_add_f32_e32 v20, v22, v90
	v_add_f32_e32 v21, v2, v23
	v_fma_f32 v22, 0xbf788fa5, v9, -v92
	v_fmac_f32_e32 v49, 0xbf52af12, v15
	v_fmac_f32_e32 v47, 0xbeedf032, v15
	v_add_f32_e32 v15, v20, v93
	v_fmac_f32_e32 v52, 0xbf6f5d39, v12
	v_add_f32_e32 v20, v21, v22
	v_add_f32_e32 v22, v4, v49
	v_fmac_f32_e32 v95, 0x3eedf032, v6
	v_fma_f32 v21, 0xbeb58ec6, v8, -v94
	v_fmac_f32_e32 v103, 0xbe750f2a, v11
	v_fma_f32 v23, 0x3f116cb1, v10, -v101
	v_add_f32_e32 v22, v22, v52
	v_fmamk_f32 v120, v14, 0x3f52af12, v97
	v_add_f32_e32 v15, v15, v95
	v_add_f32_e32 v20, v20, v21
	v_fma_f32 v21, 0x3f62ad3f, v3, -v96
	v_fmac_f32_e32 v97, 0xbf52af12, v14
	v_add_f32_e32 v22, v22, v103
	v_fmac_f32_e32 v106, 0x3f29c268, v6
	v_add_f32_e32 v23, v2, v23
	v_fma_f32 v24, 0xbeb58ec6, v9, -v102
	v_fmamk_f32 v117, v13, 0x3f29c268, v99
	v_add_f32_e32 v20, v20, v21
	v_fma_f32 v21, 0x3f116cb1, v5, -v98
	v_add_f32_e32 v15, v15, v97
	v_add_f32_e32 v22, v22, v106
	v_fmac_f32_e32 v99, 0xbf29c268, v13
	v_add_f32_e32 v23, v23, v24
	v_fmac_f32_e32 v110, 0x3f7e222b, v14
	v_fma_f32 v27, 0xbf788fa5, v8, -v104
	v_add_f32_e32 v4, v4, v47
	v_add_f32_e32 v20, v20, v21
	;; [unrolled: 1-line block ×3, first 2 shown]
	v_fmac_f32_e32 v48, 0xbf52af12, v12
	v_add_f32_e32 v12, v22, v110
	v_add_f32_e32 v15, v23, v27
	v_fma_f32 v22, 0xbf3f9e67, v3, -v107
	v_mul_f32_e32 v114, 0x3eedf032, v43
	v_add_f32_e32 v4, v4, v48
	v_fmac_f32_e32 v105, 0xbf7e222b, v11
	v_fma_f32 v10, 0x3f62ad3f, v10, -v50
	v_add_f32_e32 v11, v15, v22
	v_fma_f32 v15, 0x3df6dbef, v5, -v111
	v_fmac_f32_e32 v108, 0xbf6f5d39, v6
	v_add_f32_e32 v4, v4, v105
	v_add_f32_e32 v2, v2, v10
	v_fma_f32 v6, 0x3f116cb1, v9, -v51
	v_add_f32_e32 v10, v11, v15
	v_fma_f32 v15, 0x3f62ad3f, v7, -v114
	v_fmac_f32_e32 v113, 0x3eedf032, v13
	v_add_f32_e32 v4, v4, v108
	v_fmac_f32_e32 v112, 0xbf29c268, v14
	v_add_f32_e32 v2, v2, v6
	v_fma_f32 v6, 0x3df6dbef, v8, -v45
	v_mad_u64_u32 v[8:9], null, s2, v28, 0
	v_add_f32_e32 v10, v10, v15
	v_add_nc_u32_e32 v15, 0xa9, v28
	v_fmac_f32_e32 v73, 0x3eedf032, v14
	v_add_f32_e32 v11, v12, v113
	v_add_f32_e32 v14, v4, v112
	v_fma_f32 v12, 0xbeb58ec6, v3, -v109
	v_mad_u64_u32 v[3:4], null, s2, v15, 0
	v_add_f32_e32 v6, v2, v6
	v_mov_b32_e32 v2, v9
	v_add_nc_u32_e32 v22, 0x152, v28
	v_fmamk_f32 v66, v5, 0xbeb58ec6, v62
	v_fmamk_f32 v69, v5, 0x3f62ad3f, v74
	v_fma_f32 v62, 0xbeb58ec6, v5, -v62
	v_fma_f32 v74, 0x3f62ad3f, v5, -v74
	v_add_f32_e32 v9, v6, v12
	v_fma_f32 v23, 0xbf3f9e67, v5, -v44
	v_mad_u64_u32 v[5:6], null, s3, v28, v[2:3]
	v_add_f32_e32 v39, v39, v54
	v_fmamk_f32 v54, v13, 0xbf52af12, v87
	v_fmac_f32_e32 v75, 0xbf6f5d39, v13
	v_fmac_f32_e32 v87, 0x3f52af12, v13
	;; [unrolled: 1-line block ×3, first 2 shown]
	v_mad_u64_u32 v[12:13], null, s2, v22, 0
	v_mov_b32_e32 v2, v4
	v_mul_f32_e32 v64, 0x3f7e222b, v43
	v_add_f32_e32 v6, v14, v115
	v_mul_f32_e32 v76, 0xbf6f5d39, v43
	v_mul_f32_e32 v43, 0xbe750f2a, v43
	v_mad_u64_u32 v[14:15], null, s3, v15, v[2:3]
	v_fma_f32 v24, 0xbf3f9e67, v7, -v100
	v_add_f32_e32 v23, v9, v23
	v_mov_b32_e32 v9, v5
	v_mov_b32_e32 v2, v13
	v_add_co_u32 v27, vcc_lo, s12, v0
	v_add_f32_e32 v39, v39, v66
	v_fmamk_f32 v66, v7, 0xbf788fa5, v43
	v_add_f32_e32 v20, v20, v24
	v_fma_f32 v24, 0xbf788fa5, v7, -v43
	v_add_co_ci_u32_e32 v43, vcc_lo, s13, v1, vcc_lo
	v_lshlrev_b64 v[0:1], 3, v[8:9]
	v_fmamk_f32 v35, v7, 0x3df6dbef, v64
	v_fmamk_f32 v121, v7, 0xbeb58ec6, v76
	;; [unrolled: 1-line block ×4, first 2 shown]
	v_fma_f32 v64, 0x3df6dbef, v7, -v64
	v_fma_f32 v76, 0xbeb58ec6, v7, -v76
	v_mov_b32_e32 v4, v14
	v_mad_u64_u32 v[7:8], null, s3, v22, v[2:3]
	v_add_nc_u32_e32 v14, 0x1fb, v28
	v_add_co_u32 v0, vcc_lo, v27, v0
	v_lshlrev_b64 v[2:3], 3, v[3:4]
	v_add_co_ci_u32_e32 v1, vcc_lo, v43, v1, vcc_lo
	v_mad_u64_u32 v[8:9], null, s2, v14, 0
	v_mov_b32_e32 v13, v7
	global_store_dwordx2 v[0:1], v[16:17], off
	v_add_nc_u32_e32 v7, 0x2a4, v28
	v_add_co_u32 v0, vcc_lo, v27, v2
	v_add_co_ci_u32_e32 v1, vcc_lo, v43, v3, vcc_lo
	v_lshlrev_b64 v[3:4], 3, v[12:13]
	v_mov_b32_e32 v2, v9
	v_mad_u64_u32 v[12:13], null, s2, v7, 0
	v_add_nc_u32_e32 v17, 0x34d, v28
	v_add_f32_e32 v5, v23, v24
	v_mad_u64_u32 v[14:15], null, s3, v14, v[2:3]
	v_add_co_u32 v2, vcc_lo, v27, v3
	v_add_co_ci_u32_e32 v3, vcc_lo, v43, v4, vcc_lo
	v_mov_b32_e32 v4, v13
	v_mad_u64_u32 v[15:16], null, s2, v17, 0
	v_add_nc_u32_e32 v44, 0x3f6, v28
	v_add_f32_e32 v25, v39, v35
	v_add_f32_e32 v35, v41, v37
	;; [unrolled: 1-line block ×3, first 2 shown]
	v_mov_b32_e32 v9, v14
	v_mad_u64_u32 v[22:23], null, s3, v7, v[4:5]
	v_mad_u64_u32 v[23:24], null, s2, v44, 0
	global_store_dwordx2 v[0:1], v[37:38], off
	global_store_dwordx2 v[2:3], v[35:36], off
	v_lshlrev_b64 v[1:2], 3, v[8:9]
	v_mov_b32_e32 v0, v16
	v_mov_b32_e32 v13, v22
	v_add_nc_u32_e32 v9, 0x49f, v28
	v_add_f32_e32 v34, v34, v120
	v_add_f32_e32 v32, v32, v54
	v_mad_u64_u32 v[3:4], null, s3, v17, v[0:1]
	v_mov_b32_e32 v0, v24
	v_add_co_u32 v1, vcc_lo, v27, v1
	v_lshlrev_b64 v[7:8], 3, v[12:13]
	v_add_f32_e32 v34, v34, v117
	v_add_co_ci_u32_e32 v2, vcc_lo, v43, v2, vcc_lo
	v_mad_u64_u32 v[12:13], null, s3, v44, v[0:1]
	v_mad_u64_u32 v[13:14], null, s2, v9, 0
	v_mov_b32_e32 v16, v3
	global_store_dwordx2 v[1:2], v[33:34], off
	v_add_co_u32 v3, vcc_lo, v27, v7
	v_add_co_ci_u32_e32 v4, vcc_lo, v43, v8, vcc_lo
	v_lshlrev_b64 v[1:2], 3, v[15:16]
	v_mov_b32_e32 v0, v14
	v_add_f32_e32 v31, v31, v118
	v_mov_b32_e32 v24, v12
	v_add_f32_e32 v42, v42, v69
	v_add_f32_e32 v26, v29, v68
	v_mad_u64_u32 v[7:8], null, s3, v9, v[0:1]
	v_add_nc_u32_e32 v9, 0x548, v28
	global_store_dwordx2 v[3:4], v[31:32], off
	v_lshlrev_b64 v[3:4], 3, v[23:24]
	v_add_co_u32 v0, vcc_lo, v27, v1
	v_add_co_ci_u32_e32 v1, vcc_lo, v43, v2, vcc_lo
	v_mov_b32_e32 v14, v7
	v_mad_u64_u32 v[7:8], null, s2, v9, 0
	v_add_co_u32 v2, vcc_lo, v27, v3
	v_add_f32_e32 v29, v42, v121
	v_add_co_ci_u32_e32 v3, vcc_lo, v43, v4, vcc_lo
	v_add_nc_u32_e32 v15, 0x5f1, v28
	v_mov_b32_e32 v4, v8
	global_store_dwordx2 v[0:1], v[29:30], off
	global_store_dwordx2 v[2:3], v[25:26], off
	v_add_nc_u32_e32 v16, 0x69a, v28
	v_mad_u64_u32 v[2:3], null, s2, v15, 0
	v_mad_u64_u32 v[8:9], null, s3, v9, v[4:5]
	v_lshlrev_b64 v[0:1], 3, v[13:14]
	v_add_nc_u32_e32 v9, 0x743, v28
	v_add_f32_e32 v55, v55, v62
	v_mad_u64_u32 v[12:13], null, s2, v16, 0
	v_mad_u64_u32 v[3:4], null, s3, v15, v[3:4]
	;; [unrolled: 1-line block ×3, first 2 shown]
	v_add_co_u32 v0, vcc_lo, v27, v0
	v_add_nc_u32_e32 v24, 0x7ec, v28
	v_add_f32_e32 v39, v55, v64
	v_add_co_ci_u32_e32 v1, vcc_lo, v43, v1, vcc_lo
	v_mov_b32_e32 v4, v13
	v_mad_u64_u32 v[22:23], null, s2, v24, 0
	global_store_dwordx2 v[0:1], v[39:40], off
	v_mov_b32_e32 v0, v15
	v_mad_u64_u32 v[16:17], null, s3, v16, v[4:5]
	v_lshlrev_b64 v[2:3], 3, v[2:3]
	v_lshlrev_b64 v[7:8], 3, v[7:8]
	v_mad_u64_u32 v[0:1], null, s3, v9, v[0:1]
	v_mov_b32_e32 v1, v23
	v_add_f32_e32 v59, v65, v73
	v_mov_b32_e32 v13, v16
	v_add_co_u32 v7, vcc_lo, v27, v7
	v_mad_u64_u32 v[16:17], null, s3, v24, v[1:2]
	v_mov_b32_e32 v15, v0
	v_add_co_ci_u32_e32 v8, vcc_lo, v43, v8, vcc_lo
	v_lshlrev_b64 v[12:13], 3, v[12:13]
	v_add_co_u32 v0, vcc_lo, v27, v2
	v_mov_b32_e32 v23, v16
	v_add_co_ci_u32_e32 v1, vcc_lo, v43, v3, vcc_lo
	v_lshlrev_b64 v[2:3], 3, v[14:15]
	v_add_f32_e32 v60, v67, v74
	v_add_co_u32 v12, vcc_lo, v27, v12
	v_lshlrev_b64 v[14:15], 3, v[22:23]
	v_add_co_ci_u32_e32 v13, vcc_lo, v43, v13, vcc_lo
	v_add_co_u32 v2, vcc_lo, v27, v2
	v_add_f32_e32 v42, v59, v75
	v_add_f32_e32 v41, v60, v76
	v_add_f32_e32 v19, v19, v87
	v_add_co_ci_u32_e32 v3, vcc_lo, v43, v3, vcc_lo
	v_add_co_u32 v14, vcc_lo, v27, v14
	v_add_co_ci_u32_e32 v15, vcc_lo, v43, v15, vcc_lo
	global_store_dwordx2 v[7:8], v[41:42], off
	global_store_dwordx2 v[0:1], v[18:19], off
	;; [unrolled: 1-line block ×5, first 2 shown]
.LBB0_13:
	s_endpgm
	.section	.rodata,"a",@progbits
	.p2align	6, 0x0
	.amdhsa_kernel fft_rtc_back_len2197_factors_13_13_13_wgs_169_tpt_169_halfLds_sp_ip_CI_sbrr_dirReg
		.amdhsa_group_segment_fixed_size 0
		.amdhsa_private_segment_fixed_size 0
		.amdhsa_kernarg_size 88
		.amdhsa_user_sgpr_count 6
		.amdhsa_user_sgpr_private_segment_buffer 1
		.amdhsa_user_sgpr_dispatch_ptr 0
		.amdhsa_user_sgpr_queue_ptr 0
		.amdhsa_user_sgpr_kernarg_segment_ptr 1
		.amdhsa_user_sgpr_dispatch_id 0
		.amdhsa_user_sgpr_flat_scratch_init 0
		.amdhsa_user_sgpr_private_segment_size 0
		.amdhsa_wavefront_size32 1
		.amdhsa_uses_dynamic_stack 0
		.amdhsa_system_sgpr_private_segment_wavefront_offset 0
		.amdhsa_system_sgpr_workgroup_id_x 1
		.amdhsa_system_sgpr_workgroup_id_y 0
		.amdhsa_system_sgpr_workgroup_id_z 0
		.amdhsa_system_sgpr_workgroup_info 0
		.amdhsa_system_vgpr_workitem_id 0
		.amdhsa_next_free_vgpr 123
		.amdhsa_next_free_sgpr 23
		.amdhsa_reserve_vcc 1
		.amdhsa_reserve_flat_scratch 0
		.amdhsa_float_round_mode_32 0
		.amdhsa_float_round_mode_16_64 0
		.amdhsa_float_denorm_mode_32 3
		.amdhsa_float_denorm_mode_16_64 3
		.amdhsa_dx10_clamp 1
		.amdhsa_ieee_mode 1
		.amdhsa_fp16_overflow 0
		.amdhsa_workgroup_processor_mode 1
		.amdhsa_memory_ordered 1
		.amdhsa_forward_progress 0
		.amdhsa_shared_vgpr_count 0
		.amdhsa_exception_fp_ieee_invalid_op 0
		.amdhsa_exception_fp_denorm_src 0
		.amdhsa_exception_fp_ieee_div_zero 0
		.amdhsa_exception_fp_ieee_overflow 0
		.amdhsa_exception_fp_ieee_underflow 0
		.amdhsa_exception_fp_ieee_inexact 0
		.amdhsa_exception_int_div_zero 0
	.end_amdhsa_kernel
	.text
.Lfunc_end0:
	.size	fft_rtc_back_len2197_factors_13_13_13_wgs_169_tpt_169_halfLds_sp_ip_CI_sbrr_dirReg, .Lfunc_end0-fft_rtc_back_len2197_factors_13_13_13_wgs_169_tpt_169_halfLds_sp_ip_CI_sbrr_dirReg
                                        ; -- End function
	.section	.AMDGPU.csdata,"",@progbits
; Kernel info:
; codeLenInByte = 12300
; NumSgprs: 25
; NumVgprs: 123
; ScratchSize: 0
; MemoryBound: 0
; FloatMode: 240
; IeeeMode: 1
; LDSByteSize: 0 bytes/workgroup (compile time only)
; SGPRBlocks: 3
; VGPRBlocks: 15
; NumSGPRsForWavesPerEU: 25
; NumVGPRsForWavesPerEU: 123
; Occupancy: 8
; WaveLimiterHint : 1
; COMPUTE_PGM_RSRC2:SCRATCH_EN: 0
; COMPUTE_PGM_RSRC2:USER_SGPR: 6
; COMPUTE_PGM_RSRC2:TRAP_HANDLER: 0
; COMPUTE_PGM_RSRC2:TGID_X_EN: 1
; COMPUTE_PGM_RSRC2:TGID_Y_EN: 0
; COMPUTE_PGM_RSRC2:TGID_Z_EN: 0
; COMPUTE_PGM_RSRC2:TIDIG_COMP_CNT: 0
	.text
	.p2alignl 6, 3214868480
	.fill 48, 4, 3214868480
	.type	__hip_cuid_482727487a98a679,@object ; @__hip_cuid_482727487a98a679
	.section	.bss,"aw",@nobits
	.globl	__hip_cuid_482727487a98a679
__hip_cuid_482727487a98a679:
	.byte	0                               ; 0x0
	.size	__hip_cuid_482727487a98a679, 1

	.ident	"AMD clang version 19.0.0git (https://github.com/RadeonOpenCompute/llvm-project roc-6.4.0 25133 c7fe45cf4b819c5991fe208aaa96edf142730f1d)"
	.section	".note.GNU-stack","",@progbits
	.addrsig
	.addrsig_sym __hip_cuid_482727487a98a679
	.amdgpu_metadata
---
amdhsa.kernels:
  - .args:
      - .actual_access:  read_only
        .address_space:  global
        .offset:         0
        .size:           8
        .value_kind:     global_buffer
      - .offset:         8
        .size:           8
        .value_kind:     by_value
      - .actual_access:  read_only
        .address_space:  global
        .offset:         16
        .size:           8
        .value_kind:     global_buffer
      - .actual_access:  read_only
        .address_space:  global
        .offset:         24
        .size:           8
        .value_kind:     global_buffer
      - .offset:         32
        .size:           8
        .value_kind:     by_value
      - .actual_access:  read_only
        .address_space:  global
        .offset:         40
        .size:           8
        .value_kind:     global_buffer
      - .actual_access:  read_only
        .address_space:  global
        .offset:         48
        .size:           8
        .value_kind:     global_buffer
      - .offset:         56
        .size:           4
        .value_kind:     by_value
      - .actual_access:  read_only
        .address_space:  global
        .offset:         64
        .size:           8
        .value_kind:     global_buffer
      - .actual_access:  read_only
        .address_space:  global
        .offset:         72
        .size:           8
        .value_kind:     global_buffer
      - .address_space:  global
        .offset:         80
        .size:           8
        .value_kind:     global_buffer
    .group_segment_fixed_size: 0
    .kernarg_segment_align: 8
    .kernarg_segment_size: 88
    .language:       OpenCL C
    .language_version:
      - 2
      - 0
    .max_flat_workgroup_size: 169
    .name:           fft_rtc_back_len2197_factors_13_13_13_wgs_169_tpt_169_halfLds_sp_ip_CI_sbrr_dirReg
    .private_segment_fixed_size: 0
    .sgpr_count:     25
    .sgpr_spill_count: 0
    .symbol:         fft_rtc_back_len2197_factors_13_13_13_wgs_169_tpt_169_halfLds_sp_ip_CI_sbrr_dirReg.kd
    .uniform_work_group_size: 1
    .uses_dynamic_stack: false
    .vgpr_count:     123
    .vgpr_spill_count: 0
    .wavefront_size: 32
    .workgroup_processor_mode: 1
amdhsa.target:   amdgcn-amd-amdhsa--gfx1030
amdhsa.version:
  - 1
  - 2
...

	.end_amdgpu_metadata
